;; amdgpu-corpus repo=ROCm/rocFFT kind=compiled arch=gfx950 opt=O3
	.text
	.amdgcn_target "amdgcn-amd-amdhsa--gfx950"
	.amdhsa_code_object_version 6
	.protected	bluestein_single_fwd_len1440_dim1_sp_op_CI_CI ; -- Begin function bluestein_single_fwd_len1440_dim1_sp_op_CI_CI
	.globl	bluestein_single_fwd_len1440_dim1_sp_op_CI_CI
	.p2align	8
	.type	bluestein_single_fwd_len1440_dim1_sp_op_CI_CI,@function
bluestein_single_fwd_len1440_dim1_sp_op_CI_CI: ; @bluestein_single_fwd_len1440_dim1_sp_op_CI_CI
; %bb.0:
	s_load_dwordx4 s[4:7], s[0:1], 0x28
	v_mul_u32_u24_e32 v1, 0x2d9, v0
	v_mov_b32_e32 v125, 0
	v_add_u32_sdwa v132, s2, v1 dst_sel:DWORD dst_unused:UNUSED_PAD src0_sel:DWORD src1_sel:WORD_1
	v_mov_b32_e32 v133, v125
	s_waitcnt lgkmcnt(0)
	v_cmp_gt_u64_e32 vcc, s[4:5], v[132:133]
	s_and_saveexec_b64 s[2:3], vcc
	s_cbranch_execz .LBB0_31
; %bb.1:
	s_load_dwordx4 s[12:15], s[0:1], 0x18
	s_load_dwordx2 s[16:17], s[0:1], 0x0
	v_mov_b32_e32 v2, s6
	v_mov_b32_e32 v3, s7
	s_movk_i32 s2, 0x5a
	s_waitcnt lgkmcnt(0)
	s_load_dwordx4 s[4:7], s[12:13], 0x0
	v_mul_lo_u16_sdwa v1, v1, s2 dst_sel:DWORD dst_unused:UNUSED_PAD src0_sel:WORD_1 src1_sel:DWORD
	v_sub_u16_e32 v124, v0, v1
	v_lshlrev_b32_e32 v122, 3, v124
	v_mov_b32_e32 v123, v125
	s_waitcnt lgkmcnt(0)
	v_mad_u64_u32 v[0:1], s[2:3], s6, v132, 0
	v_mov_b32_e32 v4, v1
	v_mad_u64_u32 v[4:5], s[2:3], s7, v132, v[4:5]
	v_mov_b32_e32 v1, v4
	v_mad_u64_u32 v[4:5], s[2:3], s4, v124, 0
	v_mov_b32_e32 v6, v5
	v_mad_u64_u32 v[6:7], s[2:3], s5, v124, v[6:7]
	s_mul_i32 s2, s5, 0x90
	s_mul_hi_u32 s3, s4, 0x90
	v_mov_b32_e32 v5, v6
	v_lshl_add_u64 v[2:3], v[0:1], 3, v[2:3]
	s_add_i32 s3, s3, s2
	s_mul_i32 s2, s4, 0x90
	v_lshl_add_u64 v[0:1], v[4:5], 3, v[2:3]
	s_lshl_b64 s[2:3], s[2:3], 3
	v_lshl_add_u64 v[4:5], v[0:1], 0, s[2:3]
	v_lshl_add_u64 v[120:121], s[16:17], 0, v[122:123]
	;; [unrolled: 1-line block ×3, first 2 shown]
	s_movk_i32 s6, 0x1000
	v_or_b32_e32 v123, 0x480, v124
	v_lshl_add_u64 v[8:9], v[6:7], 0, s[2:3]
	global_load_dwordx2 v[10:11], v[0:1], off
	global_load_dwordx2 v[12:13], v[4:5], off
	;; [unrolled: 1-line block ×4, first 2 shown]
	global_load_dwordx2 v[146:147], v122, s[16:17]
	global_load_dwordx2 v[144:145], v122, s[16:17] offset:1152
	global_load_dwordx2 v[138:139], v122, s[16:17] offset:2304
	;; [unrolled: 1-line block ×3, first 2 shown]
	v_add_co_u32_e32 v0, vcc, s6, v120
	v_mad_u64_u32 v[6:7], s[6:7], s4, v123, 0
	v_lshl_add_u64 v[4:5], v[8:9], 0, s[2:3]
	v_mov_b32_e32 v24, v7
	global_load_dwordx2 v[8:9], v[4:5], off
	v_lshl_add_u64 v[4:5], v[4:5], 0, s[2:3]
	v_mad_u64_u32 v[24:25], s[6:7], s5, v123, v[24:25]
	global_load_dwordx2 v[18:19], v[4:5], off
	v_lshl_add_u64 v[4:5], v[4:5], 0, s[2:3]
	v_mov_b32_e32 v7, v24
	global_load_dwordx2 v[20:21], v[4:5], off
	v_lshl_add_u64 v[4:5], v[4:5], 0, s[2:3]
	v_lshl_add_u64 v[2:3], v[6:7], 3, v[2:3]
	v_addc_co_u32_e32 v1, vcc, 0, v121, vcc
	global_load_dwordx2 v[22:23], v[4:5], off
	global_load_dwordx2 v[142:143], v[0:1], off offset:512
	global_load_dwordx2 v[140:141], v[0:1], off offset:1664
	global_load_dwordx2 v[134:135], v[0:1], off offset:2816
	global_load_dwordx2 v[130:131], v[0:1], off offset:3968
	global_load_dwordx2 v[24:25], v[2:3], off
	v_mov_b32_e32 v2, 0x900
	v_mad_u64_u32 v[4:5], s[6:7], s4, v2, v[4:5]
	s_mul_i32 s6, s5, 0x900
	s_nop 0
	v_add_u32_e32 v5, s6, v5
	s_movk_i32 s6, 0x2000
	v_lshlrev_b32_e32 v151, 3, v123
	v_add_co_u32_e32 v2, vcc, s6, v120
	global_load_dwordx2 v[126:127], v151, s[16:17]
	s_nop 0
	v_addc_co_u32_e32 v3, vcc, 0, v121, vcc
	global_load_dwordx2 v[128:129], v[2:3], off offset:2176
	global_load_dwordx2 v[26:27], v[4:5], off
	s_load_dwordx2 s[12:13], s[0:1], 0x38
	s_load_dwordx4 s[8:11], s[14:15], 0x0
	v_cmp_gt_u16_e64 s[6:7], 54, v124
	s_waitcnt vmcnt(15)
	v_mul_f32_e32 v6, v11, v147
	v_mul_f32_e32 v7, v10, v147
	v_fmac_f32_e32 v6, v10, v146
	v_fma_f32 v7, v11, v146, -v7
	s_waitcnt vmcnt(14)
	v_mul_f32_e32 v10, v13, v145
	v_mul_f32_e32 v11, v12, v145
	v_fmac_f32_e32 v10, v12, v144
	v_fma_f32 v11, v13, v144, -v11
	s_waitcnt vmcnt(13)
	v_mul_f32_e32 v12, v15, v139
	v_mul_f32_e32 v13, v14, v139
	ds_write2_b64 v122, v[6:7], v[10:11] offset1:144
	s_waitcnt vmcnt(12)
	v_mul_f32_e32 v10, v17, v137
	v_mul_f32_e32 v6, v16, v137
	v_fmac_f32_e32 v12, v14, v138
	v_fma_f32 v13, v15, v138, -v13
	v_fmac_f32_e32 v10, v16, v136
	v_fma_f32 v11, v17, v136, -v6
	v_add_u32_e32 v6, 0x800, v122
	ds_write2_b64 v6, v[12:13], v[10:11] offset0:32 offset1:176
	s_waitcnt vmcnt(7)
	v_mul_f32_e32 v10, v9, v143
	v_mul_f32_e32 v7, v8, v143
	v_fmac_f32_e32 v10, v8, v142
	v_fma_f32 v11, v9, v142, -v7
	s_waitcnt vmcnt(6)
	v_mul_f32_e32 v8, v19, v141
	v_mul_f32_e32 v7, v18, v141
	v_fmac_f32_e32 v8, v18, v140
	v_fma_f32 v9, v19, v140, -v7
	v_add_u32_e32 v7, 0x1000, v122
	ds_write2_b64 v7, v[10:11], v[8:9] offset0:64 offset1:208
	s_waitcnt vmcnt(5)
	v_mul_f32_e32 v8, v20, v135
	v_mul_f32_e32 v10, v21, v135
	v_fma_f32 v11, v21, v134, -v8
	s_waitcnt vmcnt(4)
	v_mul_f32_e32 v12, v23, v131
	v_mul_f32_e32 v8, v22, v131
	v_fmac_f32_e32 v10, v20, v134
	v_fmac_f32_e32 v12, v22, v130
	v_fma_f32 v13, v23, v130, -v8
	v_add_u32_e32 v8, 0x1800, v122
	s_waitcnt vmcnt(2)
	v_mul_f32_e32 v9, v24, v127
	ds_write2_b64 v8, v[10:11], v[12:13] offset0:96 offset1:240
	v_mul_f32_e32 v10, v25, v127
	v_fma_f32 v11, v25, v126, -v9
	s_waitcnt vmcnt(0)
	v_mul_f32_e32 v12, v27, v129
	v_mul_f32_e32 v9, v26, v129
	v_fmac_f32_e32 v10, v24, v126
	v_fmac_f32_e32 v12, v26, v128
	v_fma_f32 v13, v27, v128, -v9
	v_add_u32_e32 v9, 0x2400, v122
	ds_write2_b64 v9, v[10:11], v[12:13] offset1:144
	s_and_saveexec_b64 s[14:15], s[6:7]
	s_cbranch_execz .LBB0_3
; %bb.2:
	v_mov_b32_e32 v10, 0xffffda50
	s_mulk_i32 s5, 0xda50
	v_mad_u64_u32 v[4:5], s[18:19], s4, v10, v[4:5]
	s_sub_i32 s4, s5, s4
	v_add_u32_e32 v5, s4, v5
	global_load_dwordx2 v[10:11], v[4:5], off
	global_load_dwordx2 v[12:13], v[120:121], off offset:720
	v_lshl_add_u64 v[4:5], v[4:5], 0, s[2:3]
	global_load_dwordx2 v[14:15], v[4:5], off
	global_load_dwordx2 v[16:17], v[120:121], off offset:1872
	v_lshl_add_u64 v[4:5], v[4:5], 0, s[2:3]
	global_load_dwordx2 v[18:19], v[4:5], off
	global_load_dwordx2 v[20:21], v[120:121], off offset:3024
	global_load_dwordx2 v[22:23], v[0:1], off offset:80
	v_lshl_add_u64 v[4:5], v[4:5], 0, s[2:3]
	global_load_dwordx2 v[24:25], v[4:5], off
	v_lshl_add_u64 v[4:5], v[4:5], 0, s[2:3]
	global_load_dwordx2 v[26:27], v[4:5], off
	global_load_dwordx2 v[28:29], v[0:1], off offset:1232
	v_lshl_add_u64 v[4:5], v[4:5], 0, s[2:3]
	global_load_dwordx2 v[30:31], v[4:5], off
	global_load_dwordx2 v[32:33], v[0:1], off offset:2384
	;; [unrolled: 3-line block ×3, first 2 shown]
	global_load_dwordx2 v[38:39], v[2:3], off offset:592
	v_lshl_add_u64 v[0:1], v[4:5], 0, s[2:3]
	global_load_dwordx2 v[4:5], v[0:1], off
	v_lshl_add_u64 v[0:1], v[0:1], 0, s[2:3]
	global_load_dwordx2 v[40:41], v[0:1], off
	global_load_dwordx2 v[42:43], v[2:3], off offset:1744
	global_load_dwordx2 v[44:45], v[2:3], off offset:2896
	v_lshl_add_u64 v[0:1], v[0:1], 0, s[2:3]
	global_load_dwordx2 v[0:1], v[0:1], off
	v_add_u32_e32 v46, 0xa00, v122
	v_add_u32_e32 v47, 0x1400, v122
	;; [unrolled: 1-line block ×3, first 2 shown]
	s_waitcnt vmcnt(18)
	v_mul_f32_e32 v2, v11, v13
	v_mul_f32_e32 v3, v10, v13
	v_fmac_f32_e32 v2, v10, v12
	v_fma_f32 v3, v11, v12, -v3
	s_waitcnt vmcnt(16)
	v_mul_f32_e32 v10, v15, v17
	v_mul_f32_e32 v11, v14, v17
	v_fmac_f32_e32 v10, v14, v16
	v_fma_f32 v11, v15, v16, -v11
	s_waitcnt vmcnt(14)
	v_mul_f32_e32 v12, v19, v21
	v_mul_f32_e32 v13, v18, v21
	ds_write2_b64 v122, v[2:3], v[10:11] offset0:90 offset1:234
	s_waitcnt vmcnt(12)
	v_mul_f32_e32 v2, v25, v23
	v_mul_f32_e32 v3, v24, v23
	v_fmac_f32_e32 v12, v18, v20
	v_fma_f32 v13, v19, v20, -v13
	v_fmac_f32_e32 v2, v24, v22
	v_fma_f32 v3, v25, v22, -v3
	s_waitcnt vmcnt(10)
	v_mul_f32_e32 v10, v27, v29
	v_mul_f32_e32 v11, v26, v29
	ds_write2_b64 v46, v[12:13], v[2:3] offset0:58 offset1:202
	s_waitcnt vmcnt(8)
	v_mul_f32_e32 v2, v31, v33
	v_mul_f32_e32 v3, v30, v33
	v_fmac_f32_e32 v10, v26, v28
	v_fma_f32 v11, v27, v28, -v11
	;; [unrolled: 11-line block ×4, first 2 shown]
	v_fmac_f32_e32 v2, v0, v44
	v_fma_f32 v3, v1, v44, -v3
	ds_write2_b64 v9, v[4:5], v[2:3] offset0:90 offset1:234
.LBB0_3:
	s_or_b64 exec, exec, s[14:15]
	s_waitcnt lgkmcnt(0)
	s_barrier
	ds_read2_b64 v[16:19], v122 offset1:144
	ds_read2_b64 v[36:39], v6 offset0:32 offset1:176
	ds_read2_b64 v[32:35], v7 offset0:64 offset1:208
	;; [unrolled: 1-line block ×3, first 2 shown]
	ds_read2_b64 v[24:27], v9 offset1:144
	s_load_dwordx2 s[0:1], s[0:1], 0x8
                                        ; implicit-def: $vgpr8
                                        ; implicit-def: $vgpr12
                                        ; implicit-def: $vgpr4
                                        ; implicit-def: $vgpr20
                                        ; implicit-def: $vgpr0
                                        ; implicit-def: $vgpr40
                                        ; implicit-def: $vgpr10
                                        ; implicit-def: $vgpr14
                                        ; implicit-def: $vgpr6
                                        ; implicit-def: $vgpr22
	s_and_saveexec_b64 s[2:3], s[6:7]
	s_cbranch_execz .LBB0_5
; %bb.4:
	v_add_u32_e32 v4, 0xa00, v122
	v_add_u32_e32 v8, 0x2400, v122
	;; [unrolled: 1-line block ×4, first 2 shown]
	ds_read2_b64 v[0:3], v122 offset0:90 offset1:234
	ds_read2_b64 v[4:7], v4 offset0:58 offset1:202
	ds_read2_b64 v[8:11], v8 offset0:90 offset1:234
	ds_read2_b64 v[12:15], v12 offset0:58 offset1:202
	ds_read2_b64 v[20:23], v20 offset0:26 offset1:170
	s_waitcnt lgkmcnt(0)
	v_mov_b32_e32 v40, v11
	v_mov_b32_e32 v41, v10
	;; [unrolled: 1-line block ×10, first 2 shown]
.LBB0_5:
	s_or_b64 exec, exec, s[2:3]
	s_waitcnt lgkmcnt(0)
	v_pk_add_f32 v[2:3], v[16:17], v[36:37]
	v_pk_add_f32 v[42:43], v[18:19], v[38:39]
	;; [unrolled: 1-line block ×5, first 2 shown]
	s_mov_b32 s4, 0x3f737871
	v_pk_add_f32 v[42:43], v[42:43], v[30:31]
	v_pk_add_f32 v[44:45], v[32:33], v[28:29]
	v_pk_add_f32 v[46:47], v[36:37], v[24:25] neg_lo:[0,1] neg_hi:[0,1]
	v_pk_add_f32 v[48:49], v[32:33], v[28:29] neg_lo:[0,1] neg_hi:[0,1]
	;; [unrolled: 1-line block ×3, first 2 shown]
	v_pk_add_f32 v[54:55], v[36:37], v[24:25]
	v_pk_add_f32 v[28:29], v[28:29], v[24:25] neg_lo:[0,1] neg_hi:[0,1]
	v_pk_add_f32 v[66:67], v[2:3], v[24:25]
	v_pk_add_f32 v[2:3], v[20:21], v[12:13] neg_lo:[0,1] neg_hi:[0,1]
	v_pk_add_f32 v[24:25], v[8:9], v[4:5]
	s_mov_b32 s5, 0xbf737871
	v_pk_add_f32 v[50:51], v[36:37], v[32:33] neg_lo:[0,1] neg_hi:[0,1]
	v_pk_add_f32 v[32:33], v[32:33], v[36:37] neg_lo:[0,1] neg_hi:[0,1]
	;; [unrolled: 1-line block ×3, first 2 shown]
	v_pk_add_f32 v[36:37], v[38:39], v[26:27]
	v_pk_add_f32 v[58:59], v[34:35], v[38:39] neg_lo:[0,1] neg_hi:[0,1]
	v_pk_add_f32 v[60:61], v[38:39], v[34:35] neg_lo:[0,1] neg_hi:[0,1]
	;; [unrolled: 1-line block ×4, first 2 shown]
	v_pk_add_f32 v[68:69], v[42:43], v[26:27]
	v_pk_fma_f32 v[24:25], v[24:25], 0.5, v[0:1] op_sel_hi:[1,0,1] neg_lo:[1,0,0] neg_hi:[1,0,0]
	v_pk_mul_f32 v[26:27], v[2:3], s[4:5] op_sel_hi:[1,0]
	v_pk_add_f32 v[62:63], v[34:35], v[30:31] neg_lo:[0,1] neg_hi:[0,1]
	v_pk_add_f32 v[34:35], v[34:35], v[30:31]
	v_pk_add_f32 v[30:31], v[24:25], v[26:27] op_sel:[0,1] op_sel_hi:[1,0]
	v_pk_add_f32 v[24:25], v[24:25], v[26:27] op_sel:[0,1] op_sel_hi:[1,0] neg_lo:[0,1] neg_hi:[0,1]
	v_pk_add_f32 v[26:27], v[14:15], v[6:7] neg_lo:[0,1] neg_hi:[0,1]
	v_pk_add_f32 v[42:43], v[40:41], v[10:11] neg_lo:[0,1] neg_hi:[0,1]
	;; [unrolled: 1-line block ×3, first 2 shown]
	v_pk_add_f32 v[42:43], v[42:43], v[26:27]
	v_pk_add_f32 v[26:27], v[40:41], v[14:15]
	s_mov_b32 s2, 0x3f167918
	v_pk_fma_f32 v[26:27], v[26:27], 0.5, v[22:23] op_sel_hi:[1,0,1] neg_lo:[1,0,0] neg_hi:[1,0,0]
	v_pk_add_f32 v[70:71], v[14:15], v[40:41] neg_lo:[0,1] neg_hi:[0,1]
	v_pk_fma_f32 v[74:75], v[72:73], s[4:5], v[26:27] op_sel:[0,0,1] op_sel_hi:[1,0,0]
	v_pk_fma_f32 v[26:27], v[72:73], s[4:5], v[26:27] op_sel:[0,0,1] op_sel_hi:[1,0,0] neg_lo:[1,0,0] neg_hi:[1,0,0]
	v_pk_fma_f32 v[74:75], v[70:71], s[2:3], v[74:75] op_sel_hi:[1,0,1] neg_lo:[1,0,0] neg_hi:[1,0,0]
	v_pk_fma_f32 v[76:77], v[70:71], s[2:3], v[26:27] op_sel_hi:[1,0,1]
	v_pk_add_f32 v[26:27], v[6:7], v[10:11]
	v_pk_mul_f32 v[70:71], v[70:71], s[4:5] op_sel_hi:[1,0]
	v_pk_fma_f32 v[26:27], v[26:27], 0.5, v[22:23] op_sel_hi:[1,0,1] neg_lo:[1,0,0] neg_hi:[1,0,0]
	v_pk_add_f32 v[28:29], v[32:33], v[28:29]
	v_pk_add_f32 v[78:79], v[26:27], v[70:71] op_sel:[0,1] op_sel_hi:[1,0]
	v_pk_add_f32 v[26:27], v[26:27], v[70:71] op_sel:[0,1] op_sel_hi:[1,0] neg_lo:[0,1] neg_hi:[0,1]
	v_pk_mul_f32 v[70:71], v[72:73], s[2:3] op_sel_hi:[1,0]
	v_pk_add_f32 v[32:33], v[58:59], v[38:39]
	v_pk_add_f32 v[72:73], v[78:79], v[70:71] op_sel:[0,1] op_sel_hi:[1,0]
	v_pk_add_f32 v[26:27], v[26:27], v[70:71] op_sel:[0,1] op_sel_hi:[1,0] neg_lo:[0,1] neg_hi:[0,1]
	v_pk_fma_f32 v[36:37], v[36:37], 0.5, v[18:19] op_sel_hi:[1,0,1] neg_lo:[1,0,0] neg_hi:[1,0,0]
	v_pk_mul_f32 v[38:39], v[62:63], s[4:5] op_sel_hi:[1,0]
	s_mov_b32 s14, 0x3e9e377a
	v_mov_b32_e32 v81, v27
	v_mov_b32_e32 v27, v73
	v_pk_add_f32 v[58:59], v[36:37], v[38:39] op_sel:[0,1] op_sel_hi:[1,0] neg_lo:[0,1] neg_hi:[0,1]
	v_pk_add_f32 v[36:37], v[36:37], v[38:39] op_sel:[0,1] op_sel_hi:[1,0]
	v_pk_add_f32 v[38:39], v[4:5], v[8:9] neg_lo:[0,1] neg_hi:[0,1]
	v_pk_fma_f32 v[82:83], v[42:43], s[14:15], v[26:27] op_sel_hi:[1,0,1]
	v_pk_fma_f32 v[70:71], v[38:39], s[2:3], v[24:25] op_sel:[1,0,0] op_sel_hi:[0,0,1]
	v_pk_fma_f32 v[30:31], v[38:39], s[2:3], v[30:31] op_sel:[1,0,0] op_sel_hi:[0,0,1] neg_lo:[1,0,0] neg_hi:[1,0,0]
	v_pk_mul_f32 v[78:79], v[2:3], s[2:3] op_sel_hi:[1,0]
	v_pk_mul_f32 v[84:85], v[82:83], s[2:3] op_sel_hi:[1,0]
	s_mov_b32 s3, 0xbf167918
	v_pk_mul_f32 v[2:3], v[56:57], s[2:3] op_sel_hi:[1,0]
	s_mov_b32 s18, s5
	v_pk_add_f32 v[24:25], v[36:37], v[2:3] op_sel:[0,1] op_sel_hi:[1,0] neg_lo:[0,1] neg_hi:[0,1]
	v_pk_add_f32 v[2:3], v[58:59], v[2:3] op_sel:[0,1] op_sel_hi:[1,0]
	v_mov_b32_e32 v27, v25
	v_mov_b32_e32 v26, v2
	v_pk_fma_f32 v[26:27], v[32:33], s[14:15], v[26:27] op_sel_hi:[1,0,1]
	v_mov_b32_e32 v25, v3
	v_pk_mul_f32 v[36:37], v[26:27], s[4:5] op_sel_hi:[1,0]
	v_pk_fma_f32 v[2:3], v[32:33], s[14:15], v[24:25] op_sel_hi:[1,0,1]
	v_pk_fma_f32 v[58:59], v[26:27], s[14:15], v[36:37] op_sel:[0,0,1] op_sel_hi:[1,0,0]
	v_pk_fma_f32 v[26:27], v[26:27], s[14:15], v[36:37] op_sel:[0,0,1] op_sel_hi:[1,0,0] neg_lo:[0,0,1] neg_hi:[0,0,1]
	v_pk_mul_f32 v[36:37], v[48:49], s[4:5] op_sel_hi:[1,0]
	v_mov_b32_e32 v59, v27
	v_pk_fma_f32 v[26:27], v[54:55], 0.5, v[16:17] op_sel_hi:[1,0,1] neg_lo:[1,0,0] neg_hi:[1,0,0]
	s_mov_b32 s19, s4
	v_pk_add_f32 v[54:55], v[26:27], v[36:37] op_sel:[0,1] op_sel_hi:[1,0] neg_lo:[0,1] neg_hi:[0,1]
	v_pk_add_f32 v[26:27], v[26:27], v[36:37] op_sel:[0,1] op_sel_hi:[1,0]
	v_pk_mul_f32 v[36:37], v[46:47], s[2:3] op_sel_hi:[1,0]
	v_pk_mul_f32 v[24:25], v[2:3], s[14:15] op_sel_hi:[1,0]
	v_pk_add_f32 v[26:27], v[26:27], v[36:37] op_sel:[0,1] op_sel_hi:[1,0] neg_lo:[0,1] neg_hi:[0,1]
	v_pk_add_f32 v[36:37], v[54:55], v[36:37] op_sel:[0,1] op_sel_hi:[1,0]
	v_pk_fma_f32 v[54:55], v[2:3], s[18:19], v[24:25] op_sel:[0,0,1] op_sel_hi:[1,1,0] neg_lo:[0,0,1] neg_hi:[0,0,1]
	v_mov_b32_e32 v2, v36
	v_mov_b32_e32 v3, v27
	;; [unrolled: 1-line block ×3, first 2 shown]
	v_pk_fma_f32 v[86:87], v[28:29], s[14:15], v[2:3] op_sel_hi:[1,0,1]
	v_pk_fma_f32 v[88:89], v[28:29], s[14:15], v[26:27] op_sel_hi:[1,0,1]
	v_mul_lo_u16_e32 v2, 10, v124
	v_lshlrev_b32_e32 v133, 3, v2
	v_pk_add_f32 v[24:25], v[86:87], v[58:59]
	v_pk_add_f32 v[26:27], v[88:89], v[54:55] op_sel:[0,1] op_sel_hi:[1,0]
	s_barrier
	ds_write_b128 v133, v[24:27] offset:16
	v_pk_add_f32 v[2:3], v[6:7], v[14:15] neg_lo:[0,1] neg_hi:[0,1]
	v_pk_add_f32 v[24:25], v[10:11], v[40:41] neg_lo:[0,1] neg_hi:[0,1]
	v_mov_b32_e32 v28, v76
	v_pk_add_f32 v[26:27], v[24:25], v[2:3]
	v_pk_add_f32 v[2:3], v[12:13], v[8:9] neg_lo:[0,1] neg_hi:[0,1]
	v_pk_add_f32 v[24:25], v[20:21], v[4:5] neg_lo:[0,1] neg_hi:[0,1]
	v_mov_b32_e32 v29, v75
	v_pk_add_f32 v[24:25], v[2:3], v[24:25]
	v_mov_b32_e32 v2, v30
	v_mov_b32_e32 v3, v71
	;; [unrolled: 1-line block ×3, first 2 shown]
	v_pk_mul_f32 v[30:31], v[26:27], s[14:15] op_sel_hi:[1,0]
	v_pk_fma_f32 v[18:19], v[34:35], 0.5, v[18:19] op_sel_hi:[1,0,1] neg_lo:[1,0,0] neg_hi:[1,0,0]
	v_pk_add_f32 v[28:29], v[30:31], v[28:29] op_sel:[1,0] op_sel_hi:[0,1]
	v_mov_b32_e32 v30, v77
	v_mov_b32_e32 v31, v74
	v_pk_mul_f32 v[32:33], v[28:29], s[4:5] op_sel_hi:[1,0]
	v_pk_fma_f32 v[30:31], v[26:27], s[14:15], v[30:31] op_sel_hi:[1,0,1]
	v_pk_fma_f32 v[26:27], v[28:29], s[14:15], v[32:33] op_sel:[0,0,1] op_sel_hi:[1,0,0]
	v_pk_fma_f32 v[28:29], v[28:29], s[14:15], v[32:33] op_sel:[0,0,1] op_sel_hi:[1,0,0] neg_lo:[0,0,1] neg_hi:[0,0,1]
	v_pk_add_f32 v[32:33], v[8:9], v[12:13] neg_lo:[0,1] neg_hi:[0,1]
	v_mov_b32_e32 v27, v29
	v_pk_mul_f32 v[28:29], v[30:31], s[14:15] op_sel_hi:[1,0]
	v_mov_b32_e32 v80, v72
	v_pk_fma_f32 v[28:29], v[30:31], s[4:5], v[28:29] op_sel:[0,0,1] op_sel_hi:[1,1,0] neg_lo:[0,0,1] neg_hi:[0,0,1]
	v_pk_add_f32 v[30:31], v[4:5], v[20:21] neg_lo:[0,1] neg_hi:[0,1]
	s_mov_b32 s18, 0x3f4f1bbd
	v_pk_add_f32 v[32:33], v[32:33], v[30:31]
	v_pk_add_f32 v[30:31], v[12:13], v[20:21]
	v_pk_fma_f32 v[16:17], v[44:45], 0.5, v[16:17] op_sel_hi:[1,0,1] neg_lo:[1,0,0] neg_hi:[1,0,0]
	v_pk_fma_f32 v[30:31], v[30:31], 0.5, v[0:1] op_sel_hi:[1,0,1] neg_lo:[1,0,0] neg_hi:[1,0,0]
	s_mov_b64 s[20:21], 0x5a
	v_pk_fma_f32 v[34:35], v[38:39], s[4:5], v[30:31] op_sel:[1,0,0] op_sel_hi:[0,0,1] neg_lo:[1,0,0] neg_hi:[1,0,0]
	v_pk_fma_f32 v[30:31], v[38:39], s[4:5], v[30:31] op_sel:[1,0,0] op_sel_hi:[0,0,1]
	v_pk_add_f32 v[36:37], v[30:31], v[78:79] op_sel:[0,1] op_sel_hi:[1,0]
	v_pk_add_f32 v[30:31], v[34:35], v[78:79] op_sel:[0,1] op_sel_hi:[1,0] neg_lo:[0,1] neg_hi:[0,1]
	v_mov_b32_e32 v39, v37
	v_mov_b32_e32 v38, v30
	v_mov_b32_e32 v37, v31
	v_pk_fma_f32 v[34:35], v[42:43], s[14:15], v[80:81] op_sel_hi:[1,0,1]
	v_pk_fma_f32 v[30:31], v[32:33], s[14:15], v[38:39] op_sel_hi:[1,0,1]
	;; [unrolled: 1-line block ×3, first 2 shown]
	v_pk_fma_f32 v[32:33], v[82:83], s[18:19], v[84:85] op_sel:[0,0,1] op_sel_hi:[1,0,0]
	v_pk_fma_f32 v[36:37], v[82:83], s[18:19], v[84:85] op_sel:[0,0,1] op_sel_hi:[1,0,0] neg_lo:[0,0,1] neg_hi:[0,0,1]
	v_mov_b32_e32 v42, v33
	v_pk_mul_f32 v[32:33], v[34:35], s[18:19] op_sel_hi:[1,0]
	v_mov_b32_e32 v43, v36
	v_pk_fma_f32 v[36:37], v[34:35], s[2:3], v[32:33] op_sel:[0,0,1] op_sel_hi:[1,1,0] neg_lo:[0,0,1] neg_hi:[0,0,1]
	v_pk_mul_f32 v[34:35], v[46:47], s[4:5] op_sel_hi:[1,0]
	v_pk_add_f32 v[32:33], v[50:51], v[52:53]
	v_pk_add_f32 v[44:45], v[16:17], v[34:35] op_sel:[0,1] op_sel_hi:[1,0]
	v_pk_add_f32 v[16:17], v[16:17], v[34:35] op_sel:[0,1] op_sel_hi:[1,0] neg_lo:[0,1] neg_hi:[0,1]
	v_pk_mul_f32 v[34:35], v[48:49], s[2:3] op_sel_hi:[1,0]
	v_pk_fma_f32 v[2:3], v[24:25], s[14:15], v[2:3] op_sel_hi:[1,0,1]
	v_pk_add_f32 v[16:17], v[16:17], v[34:35] op_sel:[0,1] op_sel_hi:[1,0] neg_lo:[0,1] neg_hi:[0,1]
	v_pk_add_f32 v[34:35], v[44:45], v[34:35] op_sel:[0,1] op_sel_hi:[1,0]
	v_mov_b32_e32 v47, v17
	v_mov_b32_e32 v17, v35
	;; [unrolled: 1-line block ×3, first 2 shown]
	v_pk_fma_f32 v[48:49], v[32:33], s[14:15], v[16:17] op_sel_hi:[1,0,1]
	v_pk_mul_f32 v[16:17], v[56:57], s[4:5] op_sel_hi:[1,0]
	v_pk_fma_f32 v[46:47], v[32:33], s[14:15], v[46:47] op_sel_hi:[1,0,1]
	v_pk_add_f32 v[32:33], v[18:19], v[16:17] op_sel:[0,1] op_sel_hi:[1,0]
	v_pk_add_f32 v[16:17], v[18:19], v[16:17] op_sel:[0,1] op_sel_hi:[1,0] neg_lo:[0,1] neg_hi:[0,1]
	v_pk_mul_f32 v[18:19], v[62:63], s[2:3] op_sel_hi:[1,0]
	v_pk_add_f32 v[44:45], v[60:61], v[64:65]
	v_pk_add_f32 v[32:33], v[18:19], v[32:33] op_sel:[1,0] op_sel_hi:[0,1]
	v_pk_add_f32 v[16:17], v[16:17], v[18:19] op_sel:[0,1] op_sel_hi:[1,0] neg_lo:[0,1] neg_hi:[0,1]
	s_mov_b32 s4, s3
	v_pk_fma_f32 v[18:19], v[44:45], s[14:15], v[16:17] op_sel_hi:[1,0,1]
	v_mov_b32_e32 v17, v33
	v_pk_fma_f32 v[16:17], v[44:45], s[14:15], v[16:17] op_sel_hi:[1,0,1]
	v_pk_fma_f32 v[32:33], v[44:45], s[14:15], v[32:33] op_sel_hi:[1,0,1]
	s_mov_b32 s5, s2
	v_pk_mul_f32 v[34:35], v[16:17], s[18:19] op_sel_hi:[1,0]
	s_mov_b32 s19, s2
	v_pk_fma_f32 v[50:51], v[16:17], s[4:5], v[34:35] op_sel:[0,0,1] op_sel_hi:[1,1,0] neg_lo:[0,0,1] neg_hi:[0,0,1]
	v_pk_mul_f32 v[16:17], v[32:33], s[18:19] op_sel_hi:[0,1]
	s_mov_b32 s3, s18
	v_pk_fma_f32 v[44:45], v[18:19], s[2:3], v[16:17] op_sel:[1,0,0]
	v_pk_fma_f32 v[16:17], v[18:19], s[2:3], v[16:17] op_sel:[1,0,0] neg_lo:[0,0,1] neg_hi:[0,0,1]
	v_pk_add_f32 v[32:33], v[48:49], v[50:51] op_sel:[1,0] op_sel_hi:[0,1]
	v_mov_b32_e32 v45, v17
	v_pk_add_f32 v[16:17], v[66:67], v[68:69]
	v_pk_add_f32 v[18:19], v[46:47], v[44:45]
	v_pk_fma_f32 v[24:25], v[24:25], s[14:15], v[70:71] op_sel_hi:[1,0,1]
	v_lshl_add_u64 v[90:91], v[124:125], 0, s[20:21]
	ds_write_b128 v133, v[16:19]
	v_pk_add_f32 v[18:19], v[66:67], v[68:69] neg_lo:[0,1] neg_hi:[0,1]
	v_mov_b32_e32 v16, v33
	v_mov_b32_e32 v17, v32
	v_pk_add_f32 v[44:45], v[46:47], v[44:45] neg_lo:[0,1] neg_hi:[0,1]
	v_pk_add_f32 v[46:47], v[86:87], v[58:59] neg_lo:[0,1] neg_hi:[0,1]
	v_pk_add_f32 v[48:49], v[48:49], v[50:51] op_sel:[1,0] op_sel_hi:[0,1] neg_lo:[0,1] neg_hi:[0,1]
	v_pk_add_f32 v[32:33], v[38:39], v[42:43] neg_lo:[0,1] neg_hi:[0,1]
	v_pk_add_f32 v[34:35], v[24:25], v[26:27] neg_lo:[0,1] neg_hi:[0,1]
	ds_write_b128 v133, v[16:19] offset:32
	v_pk_add_f32 v[16:17], v[2:3], v[28:29] neg_lo:[0,1] neg_hi:[0,1]
	v_pk_add_f32 v[18:19], v[30:31], v[36:37] neg_lo:[0,1] neg_hi:[0,1]
	ds_write_b128 v133, v[44:47] offset:48
	v_pk_add_f32 v[44:45], v[88:89], v[54:55] op_sel:[0,1] op_sel_hi:[1,0] neg_lo:[0,1] neg_hi:[0,1]
	v_mov_b32_e32 v46, v49
	v_mov_b32_e32 v47, v48
	v_mul_u32_u24_e32 v153, 10, v90
	ds_write_b128 v133, v[44:47] offset:64
	s_and_saveexec_b64 s[2:3], s[6:7]
	s_cbranch_execz .LBB0_7
; %bb.6:
	v_pk_add_f32 v[0:1], v[4:5], v[0:1]
	v_lshlrev_b32_e32 v44, 3, v153
	v_pk_add_f32 v[0:1], v[20:21], v[0:1]
	v_pk_add_f32 v[2:3], v[2:3], v[28:29]
	;; [unrolled: 1-line block ×3, first 2 shown]
	s_nop 0
	v_pk_add_f32 v[8:9], v[8:9], v[0:1]
	v_pk_add_f32 v[0:1], v[14:15], v[22:23]
	s_nop 0
	v_pk_add_f32 v[0:1], v[6:7], v[0:1]
	v_pk_add_f32 v[6:7], v[38:39], v[42:43]
	;; [unrolled: 1-line block ×3, first 2 shown]
	s_nop 0
	v_pk_add_f32 v[10:11], v[40:41], v[0:1]
	v_pk_add_f32 v[0:1], v[24:25], v[26:27]
	v_pk_add_f32 v[4:5], v[10:11], v[8:9] op_sel:[1,0] op_sel_hi:[0,1]
	ds_write_b128 v44, v[0:3] offset:16
	v_pk_add_f32 v[0:1], v[30:31], v[36:37]
	v_pk_add_f32 v[2:3], v[8:9], v[10:11] op_sel:[0,1] op_sel_hi:[1,0] neg_lo:[0,1] neg_hi:[0,1]
	ds_write_b128 v44, v[4:7]
	ds_write_b128 v44, v[0:3] offset:32
	ds_write_b128 v44, v[32:35] offset:48
	;; [unrolled: 1-line block ×3, first 2 shown]
.LBB0_7:
	s_or_b64 exec, exec, s[2:3]
	s_movk_i32 s2, 0xcd
	v_mul_lo_u16_sdwa v0, v124, s2 dst_sel:DWORD dst_unused:UNUSED_PAD src0_sel:BYTE_0 src1_sel:DWORD
	v_lshrrev_b16_e32 v103, 11, v0
	v_mul_lo_u16_e32 v0, 10, v103
	v_sub_u16_e32 v0, v124, v0
	v_and_b32_e32 v108, 0xff, v0
	s_movk_i32 s2, 0x78
	v_mov_b64_e32 v[0:1], s[0:1]
	v_mad_u64_u32 v[28:29], s[2:3], v108, s2, v[0:1]
	s_waitcnt lgkmcnt(0)
	s_barrier
	global_load_dwordx4 v[4:7], v[28:29], off
	global_load_dwordx4 v[0:3], v[28:29], off offset:32
	global_load_dwordx4 v[12:15], v[28:29], off offset:80
	global_load_dwordx4 v[20:23], v[28:29], off offset:64
	global_load_dwordx4 v[8:11], v[28:29], off offset:96
	global_load_dwordx2 v[148:149], v[28:29], off offset:112
	v_add_u32_e32 v109, 0x400, v122
	global_load_dwordx4 v[24:27], v[28:29], off offset:16
	v_add_u32_e32 v30, 0x1800, v122
	v_add_u32_e32 v31, 0x2400, v122
	ds_read2_b64 v[36:39], v122 offset1:90
	v_add_u32_e32 v110, 0x800, v122
	v_add_u32_e32 v111, 0x1000, v122
	v_add_u32_e32 v112, 0x1400, v122
	v_add_u32_e32 v113, 0x2000, v122
	ds_read2_b64 v[40:43], v109 offset0:52 offset1:142
	ds_read2_b64 v[44:47], v110 offset0:104 offset1:194
	;; [unrolled: 1-line block ×7, first 2 shown]
	global_load_dwordx4 v[28:31], v[28:29], off offset:48
	s_waitcnt lgkmcnt(7)
	v_mov_b32_e32 v70, v39
	s_waitcnt lgkmcnt(5)
	v_mov_b32_e32 v71, v47
	v_mov_b32_e32 v72, v47
	;; [unrolled: 1-line block ×4, first 2 shown]
	s_waitcnt lgkmcnt(4)
	v_mov_b32_e32 v75, v49
	v_mov_b32_e32 v69, v46
	s_waitcnt lgkmcnt(2)
	v_mov_b32_e32 v80, v56
	v_mov_b32_e32 v82, v57
	;; [unrolled: 3-line block ×3, first 2 shown]
	v_mov_b32_e32 v68, v38
	v_mov_b32_e32 v73, v39
	;; [unrolled: 1-line block ×11, first 2 shown]
	s_mov_b32 s2, 0x3f3504f3
	s_mov_b32 s4, 0x3f6c835e
	;; [unrolled: 1-line block ×3, first 2 shown]
	s_barrier
	s_waitcnt vmcnt(7)
	v_mov_b32_e32 v86, v5
	s_waitcnt vmcnt(6)
	v_mov_b32_e32 v87, v1
	;; [unrolled: 2-line block ×3, first 2 shown]
	v_pk_mul_f32 v[104:105], v[58:59], v[12:13] op_sel:[1,0] op_sel_hi:[0,1]
	v_mov_b32_e32 v150, v1
	v_mov_b32_e32 v92, v1
	v_pk_mul_f32 v[70:71], v[70:71], v[86:87]
	v_pk_mul_f32 v[86:87], v[58:59], v[102:103] op_sel:[1,0] op_sel_hi:[0,1]
	v_mov_b32_e32 v1, v104
	v_mov_b32_e32 v93, v5
	;; [unrolled: 1-line block ×4, first 2 shown]
	v_pk_fma_f32 v[86:87], v[58:59], v[12:13], v[86:87] neg_lo:[0,0,1] neg_hi:[0,0,1]
	v_pk_fma_f32 v[58:59], v[58:59], v[12:13], v[0:1] op_sel:[1,0,0] op_sel_hi:[0,1,1]
	v_pk_mul_f32 v[46:47], v[46:47], v[92:93]
	v_pk_mul_f32 v[74:75], v[74:75], v[96:97]
	v_mov_b32_e32 v92, v65
	v_mov_b32_e32 v93, v57
	;; [unrolled: 1-line block ×3, first 2 shown]
	s_waitcnt vmcnt(3)
	v_mov_b32_e32 v56, v11
	v_mov_b32_e32 v57, v23
	s_waitcnt vmcnt(2)
	v_mov_b32_e32 v58, v149
	v_pk_mul_f32 v[96:97], v[66:67], v[148:149] op_sel:[1,0] op_sel_hi:[0,1]
	v_pk_mul_f32 v[56:57], v[64:65], v[56:57]
	v_pk_mul_f32 v[64:65], v[66:67], v[58:59] op_sel:[1,0] op_sel_hi:[0,1]
	v_mov_b32_e32 v58, v97
	v_pk_fma_f32 v[64:65], v[66:67], v[148:149], v[64:65] neg_lo:[0,0,1] neg_hi:[0,0,1]
	v_pk_fma_f32 v[66:67], v[66:67], v[148:149], v[58:59] op_sel:[1,0,0] op_sel_hi:[0,1,1]
	s_waitcnt vmcnt(1)
	v_mov_b32_e32 v58, v27
	v_mov_b32_e32 v94, v6
	v_mov_b32_e32 v95, v2
	v_mov_b32_e32 v100, v3
	v_mov_b32_e32 v101, v7
	v_pk_mul_f32 v[96:97], v[44:45], v[58:59] op_sel_hi:[1,0]
	s_waitcnt vmcnt(0)
	v_mov_b32_e32 v58, v31
	v_mov_b32_e32 v98, v2
	;; [unrolled: 1-line block ×3, first 2 shown]
	v_pk_mul_f32 v[48:49], v[48:49], v[100:101]
	v_pk_fma_f32 v[38:39], v[38:39], v[94:95], v[74:75] neg_lo:[0,0,1] neg_hi:[0,0,1]
	v_pk_mul_f32 v[74:75], v[52:53], v[58:59] op_sel_hi:[1,0]
	v_pk_fma_f32 v[100:101], v[44:45], v[26:27], v[96:97] op_sel:[1,0,0] op_sel_hi:[0,1,1]
	v_pk_fma_f32 v[44:45], v[44:45], v[26:27], v[96:97] op_sel:[1,0,0] op_sel_hi:[0,0,1] neg_lo:[0,0,1] neg_hi:[0,0,1]
	v_mov_b32_e32 v96, v21
	v_mov_b32_e32 v97, v9
	v_pk_fma_f32 v[48:49], v[76:77], v[98:99], v[48:49]
	v_pk_fma_f32 v[76:77], v[52:53], v[30:31], v[74:75] op_sel:[0,0,1] op_sel_hi:[1,1,0] neg_lo:[0,0,1] neg_hi:[0,0,1]
	v_pk_fma_f32 v[52:53], v[52:53], v[30:31], v[74:75] op_sel:[0,0,1] op_sel_hi:[1,0,0]
	v_pk_mul_f32 v[78:79], v[78:79], v[96:97]
	v_mov_b32_e32 v96, v63
	v_mov_b32_e32 v97, v55
	;; [unrolled: 1-line block ×10, first 2 shown]
	v_pk_mul_f32 v[54:55], v[62:63], v[54:55]
	v_mov_b32_e32 v62, v23
	v_mov_b32_e32 v63, v11
	v_mov_b32_e32 v77, v53
	v_pk_mul_f32 v[52:53], v[60:61], v[52:53] op_sel_hi:[1,0]
	v_pk_fma_f32 v[68:69], v[68:69], v[84:85], v[70:71] neg_lo:[0,0,1] neg_hi:[0,0,1]
	v_mov_b32_e32 v70, v8
	v_mov_b32_e32 v71, v20
	v_pk_fma_f32 v[46:47], v[72:73], v[88:89], v[46:47]
	v_pk_mul_f32 v[62:63], v[82:83], v[62:63]
	v_mov_b32_e32 v72, v22
	v_mov_b32_e32 v73, v10
	;; [unrolled: 1-line block ×5, first 2 shown]
	v_pk_fma_f32 v[74:75], v[60:61], v[14:15], v[52:53] op_sel:[1,0,0] op_sel_hi:[0,1,1]
	v_pk_fma_f32 v[52:53], v[60:61], v[14:15], v[52:53] op_sel:[1,0,0] op_sel_hi:[0,0,1] neg_lo:[0,0,1] neg_hi:[0,0,1]
	v_mov_b32_e32 v75, v53
	v_pk_fma_f32 v[52:53], v[96:97], v[70:71], v[54:55]
	v_pk_fma_f32 v[54:55], v[80:81], v[72:73], v[62:63] neg_lo:[0,0,1] neg_hi:[0,0,1]
	v_pk_fma_f32 v[44:45], v[92:93], v[44:45], v[56:57]
	v_pk_add_f32 v[56:57], v[36:37], v[76:77] neg_lo:[0,1] neg_hi:[0,1]
	v_pk_add_f32 v[60:61], v[100:101], v[74:75] neg_lo:[0,1] neg_hi:[0,1]
	;; [unrolled: 1-line block ×4, first 2 shown]
	v_mov_b32_e32 v87, v64
	v_mov_b32_e32 v67, v59
	v_pk_add_f32 v[58:59], v[56:57], v[60:61] neg_lo:[0,1] neg_hi:[0,1]
	v_pk_add_f32 v[62:63], v[56:57], v[60:61]
	v_pk_add_f32 v[64:65], v[54:55], v[44:45] neg_lo:[0,1] neg_hi:[0,1]
	v_pk_add_f32 v[70:71], v[54:55], v[44:45]
	v_mov_b32_e32 v59, v63
	v_mov_b32_e32 v65, v71
	;; [unrolled: 1-line block ×4, first 2 shown]
	v_pk_mul_f32 v[74:75], v[64:65], s[2:3] op_sel_hi:[1,0]
	v_pk_fma_f32 v[76:77], v[64:65], s[2:3], v[58:59] op_sel_hi:[1,0,1]
	v_pk_fma_f32 v[40:41], v[40:41], v[106:107], v[78:79] neg_lo:[0,0,1] neg_hi:[0,0,1]
	v_pk_add_f32 v[78:79], v[76:77], v[74:75] op_sel:[0,1] op_sel_hi:[1,0] neg_lo:[0,1] neg_hi:[0,1]
	v_pk_add_f32 v[74:75], v[76:77], v[74:75] op_sel:[0,1] op_sel_hi:[1,0]
	v_mov_b32_e32 v154, v5
	v_fma_f32 v5, v63, 2.0, -v75
	v_pk_mul_f32 v[62:63], v[42:43], v[24:25] op_sel:[0,1]
	v_mov_b32_e32 v79, v75
	v_pk_fma_f32 v[74:75], v[42:43], v[24:25], v[62:63] op_sel:[0,0,1] op_sel_hi:[1,1,0] neg_lo:[0,0,1] neg_hi:[0,0,1]
	v_pk_fma_f32 v[42:43], v[42:43], v[24:25], v[62:63] op_sel:[0,0,1] op_sel_hi:[1,0,0]
	v_pk_mul_f32 v[62:63], v[50:51], v[28:29] op_sel:[0,1]
	v_pk_add_f32 v[40:41], v[68:69], v[40:41] neg_lo:[0,1] neg_hi:[0,1]
	v_pk_fma_f32 v[76:77], v[50:51], v[28:29], v[62:63] op_sel:[0,0,1] op_sel_hi:[1,1,0] neg_lo:[0,0,1] neg_hi:[0,0,1]
	v_pk_fma_f32 v[50:51], v[50:51], v[28:29], v[62:63] op_sel:[0,0,1] op_sel_hi:[1,0,0]
	v_pk_add_f32 v[52:53], v[46:47], v[52:53] neg_lo:[0,1] neg_hi:[0,1]
	v_mov_b32_e32 v62, v38
	v_mov_b32_e32 v63, v49
	;; [unrolled: 1-line block ×12, first 2 shown]
	v_pk_add_f32 v[70:71], v[40:41], v[52:53] neg_lo:[0,1] neg_hi:[0,1]
	v_pk_add_f32 v[72:73], v[40:41], v[52:53]
	v_mov_b32_e32 v75, v43
	v_mov_b32_e32 v80, v54
	v_pk_fma_f32 v[38:39], v[38:39], 2.0, v[48:49] op_sel_hi:[1,0,1] neg_lo:[0,0,1] neg_hi:[0,0,1]
	v_mov_b32_e32 v48, v40
	v_mov_b32_e32 v54, v69
	;; [unrolled: 1-line block ×4, first 2 shown]
	v_pk_add_f32 v[46:47], v[46:47], v[86:87] neg_lo:[0,1] neg_hi:[0,1]
	v_pk_add_f32 v[42:43], v[42:43], v[66:67] neg_lo:[0,1] neg_hi:[0,1]
	v_mov_b32_e32 v77, v51
	v_mov_b32_e32 v44, v68
	;; [unrolled: 1-line block ×3, first 2 shown]
	v_pk_fma_f32 v[40:41], v[54:55], 2.0, v[40:41] op_sel_hi:[1,0,1] neg_lo:[0,0,1] neg_hi:[0,0,1]
	v_mov_b32_e32 v50, v46
	v_mov_b32_e32 v51, v43
	;; [unrolled: 1-line block ×4, first 2 shown]
	v_pk_fma_f32 v[36:37], v[36:37], 2.0, v[56:57] op_sel_hi:[1,0,1] neg_lo:[0,0,1] neg_hi:[0,0,1]
	v_pk_fma_f32 v[60:61], v[100:101], 2.0, v[60:61] op_sel_hi:[1,0,1] neg_lo:[0,0,1] neg_hi:[0,0,1]
	;; [unrolled: 1-line block ×6, first 2 shown]
	v_pk_add_f32 v[60:61], v[36:37], v[60:61] op_sel:[0,1] op_sel_hi:[1,0] neg_lo:[0,1] neg_hi:[0,1]
	v_pk_add_f32 v[38:39], v[62:63], v[38:39] neg_lo:[0,1] neg_hi:[0,1]
	v_pk_add_f32 v[40:41], v[44:45], v[40:41] neg_lo:[0,1] neg_hi:[0,1]
	v_pk_add_f32 v[54:55], v[52:53], v[54:55] neg_lo:[0,1] neg_hi:[0,1]
	v_pk_add_f32 v[66:67], v[46:47], v[42:43] neg_lo:[0,1] neg_hi:[0,1]
	v_pk_add_f32 v[42:43], v[46:47], v[42:43]
	v_mov_b32_e32 v71, v73
	v_pk_fma_f32 v[36:37], v[36:37], 2.0, v[60:61] op_sel_hi:[1,0,1] neg_lo:[0,0,1] neg_hi:[0,0,1]
	v_pk_fma_f32 v[62:63], v[62:63], 2.0, v[38:39] op_sel_hi:[1,0,1] neg_lo:[0,0,1] neg_hi:[0,0,1]
	;; [unrolled: 1-line block ×4, first 2 shown]
	v_mov_b32_e32 v67, v43
	v_mov_b32_e32 v152, v3
	v_fma_f32 v3, v58, 2.0, -v78
	v_pk_add_f32 v[42:43], v[36:37], v[62:63] neg_lo:[0,1] neg_hi:[0,1]
	v_pk_add_f32 v[46:47], v[44:45], v[52:53] neg_lo:[0,1] neg_hi:[0,1]
	v_pk_mul_f32 v[52:53], v[66:67], s[2:3] op_sel_hi:[1,0]
	v_pk_fma_f32 v[62:63], v[66:67], s[2:3], v[70:71] op_sel_hi:[1,0,1]
	v_pk_fma_f32 v[56:57], v[56:57], 2.0, v[58:59] op_sel_hi:[1,0,1] neg_lo:[0,0,1] neg_hi:[0,0,1]
	v_pk_fma_f32 v[58:59], v[80:81], 2.0, v[64:65] op_sel_hi:[1,0,1] neg_lo:[0,0,1] neg_hi:[0,0,1]
	v_pk_add_f32 v[68:69], v[62:63], v[52:53] op_sel:[0,1] op_sel_hi:[1,0] neg_lo:[0,1] neg_hi:[0,1]
	v_pk_fma_f32 v[48:49], v[48:49], 2.0, v[70:71] op_sel_hi:[1,0,1] neg_lo:[0,0,1] neg_hi:[0,0,1]
	v_pk_mul_f32 v[64:65], v[58:59], s[2:3] op_sel_hi:[1,0]
	v_pk_fma_f32 v[58:59], v[58:59], s[2:3], v[56:57] op_sel_hi:[1,0,1] neg_lo:[1,0,0] neg_hi:[1,0,0]
	v_pk_fma_f32 v[50:51], v[50:51], 2.0, v[66:67] op_sel_hi:[1,0,1] neg_lo:[0,0,1] neg_hi:[0,0,1]
	v_mov_b32_e32 v156, v7
	v_fma_f32 v7, v70, 2.0, -v68
	v_pk_add_f32 v[70:71], v[58:59], v[64:65] op_sel:[0,1] op_sel_hi:[1,0] neg_lo:[0,1] neg_hi:[0,1]
	v_pk_add_f32 v[58:59], v[58:59], v[64:65] op_sel:[0,1] op_sel_hi:[1,0]
	v_pk_mul_f32 v[64:65], v[50:51], s[2:3] op_sel_hi:[1,0]
	v_pk_fma_f32 v[50:51], v[50:51], s[2:3], v[48:49] op_sel_hi:[1,0,1] neg_lo:[1,0,0] neg_hi:[1,0,0]
	v_pk_add_f32 v[52:53], v[62:63], v[52:53] op_sel:[0,1] op_sel_hi:[1,0]
	v_pk_add_f32 v[66:67], v[50:51], v[64:65] op_sel:[0,1] op_sel_hi:[1,0] neg_lo:[0,1] neg_hi:[0,1]
	v_pk_add_f32 v[50:51], v[50:51], v[64:65] op_sel:[0,1] op_sel_hi:[1,0]
	v_mov_b32_e32 v71, v59
	v_mov_b32_e32 v67, v51
	;; [unrolled: 1-line block ×3, first 2 shown]
	v_pk_fma_f32 v[56:57], v[56:57], 2.0, v[70:71] op_sel_hi:[1,0,1] neg_lo:[0,0,1] neg_hi:[0,0,1]
	v_pk_fma_f32 v[48:49], v[48:49], 2.0, v[66:67] op_sel_hi:[1,0,1] neg_lo:[0,0,1] neg_hi:[0,0,1]
	v_mov_b32_e32 v158, v9
	v_fma_f32 v9, v73, 2.0, -v53
	v_pk_fma_f32 v[72:73], v[68:69], s[4:5], v[78:79] op_sel_hi:[1,0,1]
	v_pk_mul_f32 v[68:69], v[68:69], s[14:15] op_sel_hi:[1,0]
	v_pk_fma_f32 v[64:65], v[48:49], s[4:5], v[56:57] op_sel_hi:[1,0,1] neg_lo:[1,0,0] neg_hi:[1,0,0]
	v_pk_mul_f32 v[48:49], v[48:49], s[14:15] op_sel_hi:[1,0]
	v_mul_u32_u24_e32 v1, 0xa0, v103
	v_pk_fma_f32 v[36:37], v[36:37], 2.0, v[42:43] op_sel_hi:[1,0,1] neg_lo:[0,0,1] neg_hi:[0,0,1]
	v_pk_fma_f32 v[44:45], v[44:45], 2.0, v[46:47] op_sel_hi:[1,0,1] neg_lo:[0,0,1] neg_hi:[0,0,1]
	v_pk_add_f32 v[96:97], v[72:73], v[68:69] op_sel:[0,1] op_sel_hi:[1,0] neg_lo:[0,1] neg_hi:[0,1]
	v_pk_add_f32 v[68:69], v[72:73], v[68:69] op_sel:[0,1] op_sel_hi:[1,0]
	v_pk_add_f32 v[72:73], v[64:65], v[48:49] op_sel:[0,1] op_sel_hi:[1,0] neg_lo:[0,1] neg_hi:[0,1]
	v_pk_add_f32 v[48:49], v[64:65], v[48:49] op_sel:[0,1] op_sel_hi:[1,0]
	v_or_b32_e32 v1, v1, v108
	v_pk_add_f32 v[44:45], v[36:37], v[44:45] neg_lo:[0,1] neg_hi:[0,1]
	v_mov_b32_e32 v73, v49
	v_lshlrev_b32_e32 v1, 3, v1
	v_pk_fma_f32 v[36:37], v[36:37], 2.0, v[44:45] op_sel_hi:[1,0,1] neg_lo:[0,0,1] neg_hi:[0,0,1]
	v_pk_fma_f32 v[48:49], v[56:57], 2.0, v[72:73] op_sel_hi:[1,0,1] neg_lo:[0,0,1] neg_hi:[0,0,1]
	ds_write2_b64 v1, v[36:37], v[48:49] offset1:10
	v_pk_add_f32 v[36:37], v[60:61], v[38:39] op_sel:[0,1] op_sel_hi:[1,0] neg_lo:[0,1] neg_hi:[0,1]
	v_pk_add_f32 v[38:39], v[60:61], v[38:39] op_sel:[0,1] op_sel_hi:[1,0]
	v_pk_add_f32 v[48:49], v[40:41], v[54:55] op_sel:[0,1] op_sel_hi:[1,0] neg_lo:[0,1] neg_hi:[0,1]
	v_pk_add_f32 v[54:55], v[40:41], v[54:55] op_sel:[0,1] op_sel_hi:[1,0]
	v_mov_b32_e32 v37, v39
	v_mov_b32_e32 v49, v55
	v_fmamk_f32 v57, v51, 0x3ec3ef15, v59
	v_pk_fma_f32 v[38:39], v[60:61], 2.0, v[36:37] op_sel_hi:[1,0,1] neg_lo:[0,0,1] neg_hi:[0,0,1]
	v_pk_fma_f32 v[40:41], v[40:41], 2.0, v[48:49] op_sel_hi:[1,0,1] neg_lo:[0,0,1] neg_hi:[0,0,1]
	v_fmamk_f32 v56, v66, 0x3ec3ef15, v70
	v_fmac_f32_e32 v57, 0x3f6c835e, v66
	v_pk_mul_f32 v[54:55], v[40:41], s[2:3] op_sel_hi:[1,0]
	v_pk_fma_f32 v[40:41], v[40:41], s[2:3], v[38:39] op_sel_hi:[1,0,1] neg_lo:[1,0,0] neg_hi:[1,0,0]
	v_fmamk_f32 v52, v7, 0xbec3ef15, v3
	v_fmamk_f32 v53, v9, 0xbec3ef15, v5
	v_fmac_f32_e32 v56, 0xbf6c835e, v51
	v_fma_f32 v51, v59, 2.0, -v57
	v_pk_add_f32 v[58:59], v[40:41], v[54:55] op_sel:[0,1] op_sel_hi:[1,0] neg_lo:[0,1] neg_hi:[0,1]
	v_pk_add_f32 v[40:41], v[40:41], v[54:55] op_sel:[0,1] op_sel_hi:[1,0]
	v_fmac_f32_e32 v52, 0xbf6c835e, v9
	v_fmac_f32_e32 v53, 0x3f6c835e, v7
	v_mov_b32_e32 v59, v41
	v_fma_f32 v62, v3, 2.0, -v52
	v_fma_f32 v63, v5, 2.0, -v53
	v_pk_fma_f32 v[38:39], v[38:39], 2.0, v[58:59] op_sel_hi:[1,0,1] neg_lo:[0,0,1] neg_hi:[0,0,1]
	ds_write2_b64 v1, v[38:39], v[62:63] offset0:20 offset1:30
	v_pk_add_f32 v[38:39], v[42:43], v[46:47] op_sel:[0,1] op_sel_hi:[1,0] neg_lo:[0,1] neg_hi:[0,1]
	v_pk_add_f32 v[40:41], v[42:43], v[46:47] op_sel:[0,1] op_sel_hi:[1,0]
	v_fma_f32 v50, v70, 2.0, -v56
	v_mov_b32_e32 v39, v41
	v_pk_fma_f32 v[40:41], v[42:43], 2.0, v[38:39] op_sel_hi:[1,0,1] neg_lo:[0,0,1] neg_hi:[0,0,1]
	ds_write2_b64 v1, v[40:41], v[50:51] offset0:40 offset1:50
	v_pk_mul_f32 v[40:41], v[48:49], s[2:3] op_sel_hi:[1,0]
	v_pk_fma_f32 v[42:43], v[48:49], s[2:3], v[36:37] op_sel_hi:[1,0,1]
	v_mov_b32_e32 v97, v69
	v_pk_add_f32 v[46:47], v[42:43], v[40:41] op_sel:[0,1] op_sel_hi:[1,0] neg_lo:[0,1] neg_hi:[0,1]
	v_pk_add_f32 v[40:41], v[42:43], v[40:41] op_sel:[0,1] op_sel_hi:[1,0]
	v_add_u32_e32 v3, 0x1c00, v122
	v_mov_b32_e32 v47, v41
	v_pk_fma_f32 v[36:37], v[36:37], 2.0, v[46:47] op_sel_hi:[1,0,1] neg_lo:[0,0,1] neg_hi:[0,0,1]
	v_pk_fma_f32 v[40:41], v[78:79], 2.0, v[96:97] op_sel_hi:[1,0,1] neg_lo:[0,0,1] neg_hi:[0,0,1]
	ds_write2_b64 v1, v[36:37], v[40:41] offset0:60 offset1:70
	ds_write2_b64 v1, v[44:45], v[72:73] offset0:80 offset1:90
	;; [unrolled: 1-line block ×5, first 2 shown]
	s_waitcnt lgkmcnt(0)
	s_barrier
	ds_read2_b64 v[80:83], v122 offset1:90
	ds_read2_b64 v[56:59], v110 offset0:104 offset1:224
	ds_read2_b64 v[84:87], v3 offset0:64 offset1:154
	;; [unrolled: 1-line block ×6, first 2 shown]
	ds_read_b64 v[88:89], v122 offset:10560
	v_mov_b32_e32 v160, v21
	v_mov_b32_e32 v164, v23
	;; [unrolled: 1-line block ×3, first 2 shown]
	v_cmp_lt_u16_e64 s[4:5], 29, v124
	v_cmp_gt_u16_e64 s[2:3], 30, v124
	s_and_saveexec_b64 s[14:15], s[2:3]
	s_cbranch_execz .LBB0_9
; %bb.8:
	ds_read_b64 v[96:97], v122 offset:3600
	ds_read_b64 v[32:33], v122 offset:7440
	;; [unrolled: 1-line block ×3, first 2 shown]
	s_waitcnt lgkmcnt(2)
	v_mov_b32_e32 v69, v97
.LBB0_9:
	s_or_b64 exec, exec, s[14:15]
	s_mov_b64 s[14:15], 0x10e
	v_lshl_add_u64 v[92:93], v[124:125], 0, s[14:15]
	s_mov_b64 s[14:15], 0x168
	v_lshl_add_u64 v[116:117], v[124:125], 0, s[14:15]
	;; [unrolled: 2-line block ×3, first 2 shown]
	v_lshl_add_u64 v[94:95], v[124:125], 0, s[14:15]
	s_mov_b32 s14, 0xcccd
	global_load_dwordx4 v[36:39], v[166:167], off offset:1200
	v_mul_u32_u24_sdwa v3, v92, s14 dst_sel:DWORD dst_unused:UNUSED_PAD src0_sel:WORD_0 src1_sel:DWORD
	v_lshrrev_b32_e32 v3, 23, v3
	v_mul_u32_u24_sdwa v7, v116, s14 dst_sel:DWORD dst_unused:UNUSED_PAD src0_sel:WORD_0 src1_sel:DWORD
	v_mul_lo_u16_e32 v5, 0xa0, v3
	v_lshrrev_b32_e32 v7, 23, v7
	v_mul_u32_u24_sdwa v9, v94, s14 dst_sel:DWORD dst_unused:UNUSED_PAD src0_sel:WORD_0 src1_sel:DWORD
	v_sub_u16_e32 v5, v92, v5
	v_mul_lo_u16_e32 v7, 0xa0, v7
	v_lshrrev_b32_e32 v9, 23, v9
	v_lshlrev_b16_e32 v40, 4, v5
	v_mov_b32_e32 v41, 0
	v_sub_u16_e32 v7, v116, v7
	v_mul_lo_u16_e32 v9, 0xa0, v9
	v_lshl_add_u64 v[70:71], s[0:1], 0, v[40:41]
	v_lshlrev_b16_e32 v40, 4, v7
	v_sub_u16_e32 v9, v94, v9
	v_lshl_add_u64 v[44:45], s[0:1], 0, v[40:41]
	v_lshlrev_b16_e32 v40, 4, v9
	v_lshl_add_u64 v[40:41], s[0:1], 0, v[40:41]
	global_load_dwordx4 v[40:43], v[40:41], off offset:1200
	s_movk_i32 s14, 0xffba
	s_mov_b32 s15, -1
	s_movk_i32 s18, 0x46
	v_lshl_add_u64 v[46:47], v[124:125], 0, s[14:15]
	v_cmp_gt_u16_e32 vcc, s18, v124
	v_mov_b32_e32 v97, v69
	s_movk_i32 s15, 0x45
	v_cndmask_b32_e32 v99, v47, v91, vcc
	v_cndmask_b32_e32 v98, v46, v90, vcc
	v_lshl_add_u64 v[46:47], v[98:99], 4, s[0:1]
	global_load_dwordx4 v[52:55], v[46:47], off offset:1200
	global_load_dwordx4 v[48:51], v[166:167], off offset:1520
	s_nop 0
	global_load_dwordx4 v[44:47], v[44:45], off offset:1200
	v_mov_b32_e32 v11, 0x1e0
	global_load_dwordx4 v[68:71], v[70:71], off offset:1200
	v_cmp_lt_u16_e32 vcc, s15, v124
	s_mov_b32 s14, 0x3f5db3d7
	s_waitcnt lgkmcnt(0)
	v_cndmask_b32_e32 v11, 0, v11, vcc
	v_add_lshl_u32 v155, v98, v11, 3
	s_barrier
	v_add_u32_e32 v11, 0xe00, v122
	s_movk_i32 s18, 0x1e0
	v_mad_legacy_u16 v3, v3, s18, v5
	v_lshlrev_b32_e32 v157, 3, v3
	v_lshlrev_b32_e32 v159, 3, v7
	v_add_u32_e32 v3, 0x1c00, v159
	v_lshlrev_b32_e32 v161, 3, v9
	s_waitcnt vmcnt(5)
	v_pk_mul_f32 v[98:99], v[58:59], v[36:37] op_sel:[0,1]
	v_mov_b32_e32 v100, v39
	v_pk_fma_f32 v[102:103], v[58:59], v[36:37], v[98:99] op_sel:[0,0,1] op_sel_hi:[1,1,0] neg_lo:[0,0,1] neg_hi:[0,0,1]
	v_pk_fma_f32 v[58:59], v[58:59], v[36:37], v[98:99] op_sel:[0,0,1] op_sel_hi:[1,0,0]
	v_pk_mul_f32 v[98:99], v[84:85], v[100:101] op_sel_hi:[1,0]
	v_mov_b32_e32 v103, v59
	v_pk_fma_f32 v[58:59], v[84:85], v[38:39], v[98:99] op_sel:[0,0,1] op_sel_hi:[1,1,0] neg_lo:[0,0,1] neg_hi:[0,0,1]
	v_pk_fma_f32 v[84:85], v[84:85], v[38:39], v[98:99] op_sel:[0,0,1] op_sel_hi:[1,0,0]
	s_nop 0
	v_mov_b32_e32 v59, v85
	v_pk_add_f32 v[84:85], v[80:81], v[102:103]
	v_pk_add_f32 v[98:99], v[102:103], v[58:59]
	v_pk_add_f32 v[100:101], v[102:103], v[58:59] neg_lo:[0,1] neg_hi:[0,1]
	v_pk_add_f32 v[58:59], v[84:85], v[58:59]
	v_pk_fma_f32 v[80:81], v[98:99], 0.5, v[80:81] op_sel_hi:[1,0,1] neg_lo:[1,0,0] neg_hi:[1,0,0]
	v_pk_mul_f32 v[84:85], v[100:101], s[14:15] op_sel_hi:[1,0]
	s_nop 0
	v_pk_add_f32 v[98:99], v[80:81], v[84:85] op_sel:[0,1] op_sel_hi:[1,0] neg_lo:[0,1] neg_hi:[0,1]
	v_pk_add_f32 v[80:81], v[80:81], v[84:85] op_sel:[0,1] op_sel_hi:[1,0]
	v_mov_b32_e32 v85, v99
	v_mov_b32_e32 v84, v80
	;; [unrolled: 1-line block ×3, first 2 shown]
	ds_write2_b64 v122, v[58:59], v[84:85] offset1:160
	ds_write_b64 v122, v[98:99] offset:2560
	s_waitcnt vmcnt(4)
	v_pk_mul_f32 v[58:59], v[32:33], v[40:41] op_sel_hi:[0,1]
	v_pk_mul_f32 v[80:81], v[34:35], v[42:43] op_sel_hi:[0,1]
	v_pk_fma_f32 v[84:85], v[32:33], v[40:41], v[58:59] op_sel:[1,0,1] op_sel_hi:[1,1,0]
	v_pk_fma_f32 v[32:33], v[32:33], v[40:41], v[58:59] op_sel:[1,0,1] op_sel_hi:[1,1,0] neg_lo:[1,0,0] neg_hi:[1,0,0]
	v_pk_fma_f32 v[58:59], v[34:35], v[42:43], v[80:81] op_sel:[1,0,1] op_sel_hi:[1,1,0]
	v_pk_fma_f32 v[34:35], v[34:35], v[42:43], v[80:81] op_sel:[1,0,1] op_sel_hi:[1,1,0] neg_lo:[1,0,0] neg_hi:[1,0,0]
	v_mov_b32_e32 v85, v33
	v_mov_b32_e32 v59, v35
	v_mov_b32_e32 v32, v33
	v_mov_b32_e32 v33, v84
	v_mov_b32_e32 v34, v35
	v_mov_b32_e32 v35, v58
	v_pk_add_f32 v[80:81], v[32:33], v[34:35]
	v_pk_add_f32 v[32:33], v[96:97], v[32:33]
	v_pk_add_f32 v[58:59], v[84:85], v[58:59] neg_lo:[0,1] neg_hi:[0,1]
	v_pk_add_f32 v[118:119], v[32:33], v[34:35]
	s_waitcnt vmcnt(3)
	v_pk_mul_f32 v[32:33], v[76:77], v[52:53] op_sel:[0,1]
	v_pk_fma_f32 v[84:85], v[80:81], 0.5, v[96:97] op_sel_hi:[1,0,1] neg_lo:[1,0,0] neg_hi:[1,0,0]
	v_pk_fma_f32 v[34:35], v[76:77], v[52:53], v[32:33] op_sel:[0,0,1] op_sel_hi:[1,1,0] neg_lo:[0,0,1] neg_hi:[0,0,1]
	v_pk_fma_f32 v[32:33], v[76:77], v[52:53], v[32:33] op_sel:[0,0,1] op_sel_hi:[1,0,0]
	v_pk_fma_f32 v[80:81], v[58:59], s[14:15], v[84:85] op_sel_hi:[1,0,1] neg_lo:[1,0,0] neg_hi:[1,0,0]
	v_mov_b32_e32 v32, v55
	v_mov_b32_e32 v35, v33
	v_pk_mul_f32 v[32:33], v[86:87], v[32:33] op_sel_hi:[1,0]
	v_pk_fma_f32 v[168:169], v[58:59], s[14:15], v[84:85] op_sel_hi:[1,0,1]
	v_pk_fma_f32 v[58:59], v[86:87], v[54:55], v[32:33] op_sel:[0,0,1] op_sel_hi:[1,1,0] neg_lo:[0,0,1] neg_hi:[0,0,1]
	v_pk_fma_f32 v[32:33], v[86:87], v[54:55], v[32:33] op_sel:[0,0,1] op_sel_hi:[1,0,0]
	s_nop 0
	v_mov_b32_e32 v59, v33
	v_pk_add_f32 v[32:33], v[82:83], v[34:35]
	v_pk_add_f32 v[76:77], v[34:35], v[58:59]
	v_pk_add_f32 v[34:35], v[34:35], v[58:59] neg_lo:[0,1] neg_hi:[0,1]
	v_pk_fma_f32 v[76:77], v[76:77], 0.5, v[82:83] op_sel_hi:[1,0,1] neg_lo:[1,0,0] neg_hi:[1,0,0]
	v_pk_mul_f32 v[34:35], v[34:35], s[14:15] op_sel_hi:[1,0]
	v_pk_add_f32 v[32:33], v[32:33], v[58:59]
	v_pk_add_f32 v[58:59], v[76:77], v[34:35] op_sel:[0,1] op_sel_hi:[1,0]
	v_pk_add_f32 v[34:35], v[76:77], v[34:35] op_sel:[0,1] op_sel_hi:[1,0] neg_lo:[0,1] neg_hi:[0,1]
	v_mov_b32_e32 v76, v58
	v_mov_b32_e32 v77, v35
	ds_write2_b64 v155, v[32:33], v[76:77] offset1:160
	v_mov_b32_e32 v35, v59
	s_waitcnt vmcnt(2)
	v_pk_mul_f32 v[32:33], v[78:79], v[48:49] op_sel:[0,1]
	ds_write_b64 v155, v[34:35] offset:2560
	v_pk_fma_f32 v[34:35], v[78:79], v[48:49], v[32:33] op_sel:[0,0,1] op_sel_hi:[1,1,0] neg_lo:[0,0,1] neg_hi:[0,0,1]
	v_pk_fma_f32 v[32:33], v[78:79], v[48:49], v[32:33] op_sel:[0,0,1] op_sel_hi:[1,0,0]
	s_nop 0
	v_mov_b32_e32 v32, v51
	v_mov_b32_e32 v35, v33
	v_pk_mul_f32 v[32:33], v[72:73], v[32:33] op_sel_hi:[1,0]
	s_nop 0
	v_pk_fma_f32 v[58:59], v[72:73], v[50:51], v[32:33] op_sel:[0,0,1] op_sel_hi:[1,1,0] neg_lo:[0,0,1] neg_hi:[0,0,1]
	v_pk_fma_f32 v[32:33], v[72:73], v[50:51], v[32:33] op_sel:[0,0,1] op_sel_hi:[1,0,0]
	s_nop 0
	v_mov_b32_e32 v59, v33
	v_pk_add_f32 v[32:33], v[34:35], v[58:59]
	v_pk_add_f32 v[72:73], v[34:35], v[58:59] neg_lo:[0,1] neg_hi:[0,1]
	v_pk_fma_f32 v[32:33], v[32:33], 0.5, v[64:65] op_sel_hi:[1,0,1] neg_lo:[1,0,0] neg_hi:[1,0,0]
	v_pk_mul_f32 v[72:73], v[72:73], s[14:15] op_sel_hi:[1,0]
	v_pk_add_f32 v[34:35], v[64:65], v[34:35]
	v_pk_add_f32 v[76:77], v[32:33], v[72:73] op_sel:[0,1] op_sel_hi:[1,0] neg_lo:[0,1] neg_hi:[0,1]
	v_pk_add_f32 v[32:33], v[32:33], v[72:73] op_sel:[0,1] op_sel_hi:[1,0]
	v_pk_add_f32 v[34:35], v[34:35], v[58:59]
	v_mov_b32_e32 v58, v32
	v_mov_b32_e32 v59, v77
	;; [unrolled: 1-line block ×3, first 2 shown]
	s_waitcnt vmcnt(0)
	v_pk_mul_f32 v[32:33], v[60:61], v[68:69] op_sel:[0,1]
	ds_write2_b64 v11, v[34:35], v[58:59] offset0:52 offset1:212
	v_pk_fma_f32 v[34:35], v[60:61], v[68:69], v[32:33] op_sel:[0,0,1] op_sel_hi:[1,1,0] neg_lo:[0,0,1] neg_hi:[0,0,1]
	v_pk_fma_f32 v[32:33], v[60:61], v[68:69], v[32:33] op_sel:[0,0,1] op_sel_hi:[1,0,0]
	ds_write_b64 v122, v[76:77] offset:6560
	v_mov_b32_e32 v32, v71
	v_mov_b32_e32 v35, v33
	v_pk_mul_f32 v[32:33], v[74:75], v[32:33] op_sel_hi:[1,0]
	s_nop 0
	v_pk_fma_f32 v[58:59], v[74:75], v[70:71], v[32:33] op_sel:[0,0,1] op_sel_hi:[1,1,0] neg_lo:[0,0,1] neg_hi:[0,0,1]
	v_pk_fma_f32 v[32:33], v[74:75], v[70:71], v[32:33] op_sel:[0,0,1] op_sel_hi:[1,0,0]
	s_nop 0
	v_mov_b32_e32 v59, v33
	v_pk_add_f32 v[32:33], v[34:35], v[58:59]
	v_pk_add_f32 v[60:61], v[34:35], v[58:59] neg_lo:[0,1] neg_hi:[0,1]
	v_pk_fma_f32 v[32:33], v[32:33], 0.5, v[66:67] op_sel_hi:[1,0,1] neg_lo:[1,0,0] neg_hi:[1,0,0]
	v_pk_mul_f32 v[60:61], v[60:61], s[14:15] op_sel_hi:[1,0]
	v_pk_add_f32 v[34:35], v[66:67], v[34:35]
	v_pk_add_f32 v[64:65], v[32:33], v[60:61] op_sel:[0,1] op_sel_hi:[1,0] neg_lo:[0,1] neg_hi:[0,1]
	v_pk_add_f32 v[32:33], v[32:33], v[60:61] op_sel:[0,1] op_sel_hi:[1,0]
	v_pk_add_f32 v[34:35], v[34:35], v[58:59]
	v_mov_b32_e32 v58, v32
	v_mov_b32_e32 v59, v65
	;; [unrolled: 1-line block ×3, first 2 shown]
	v_pk_mul_f32 v[32:33], v[62:63], v[44:45] op_sel:[0,1]
	ds_write2_b64 v157, v[34:35], v[58:59] offset1:160
	v_pk_fma_f32 v[34:35], v[62:63], v[44:45], v[32:33] op_sel:[0,0,1] op_sel_hi:[1,1,0] neg_lo:[0,0,1] neg_hi:[0,0,1]
	v_pk_fma_f32 v[32:33], v[62:63], v[44:45], v[32:33] op_sel:[0,0,1] op_sel_hi:[1,0,0]
	ds_write_b64 v157, v[64:65] offset:2560
	v_mov_b32_e32 v32, v47
	v_mov_b32_e32 v35, v33
	v_pk_mul_f32 v[32:33], v[88:89], v[32:33] op_sel_hi:[1,0]
	s_nop 0
	v_pk_fma_f32 v[58:59], v[88:89], v[46:47], v[32:33] op_sel:[0,0,1] op_sel_hi:[1,1,0] neg_lo:[0,0,1] neg_hi:[0,0,1]
	v_pk_fma_f32 v[32:33], v[88:89], v[46:47], v[32:33] op_sel:[0,0,1] op_sel_hi:[1,0,0]
	s_nop 0
	v_mov_b32_e32 v59, v33
	v_pk_add_f32 v[32:33], v[34:35], v[58:59]
	v_pk_add_f32 v[60:61], v[34:35], v[58:59] neg_lo:[0,1] neg_hi:[0,1]
	v_pk_fma_f32 v[32:33], v[32:33], 0.5, v[56:57] op_sel_hi:[1,0,1] neg_lo:[1,0,0] neg_hi:[1,0,0]
	v_pk_mul_f32 v[60:61], v[60:61], s[14:15] op_sel_hi:[1,0]
	v_pk_add_f32 v[34:35], v[56:57], v[34:35]
	v_pk_add_f32 v[62:63], v[32:33], v[60:61] op_sel:[0,1] op_sel_hi:[1,0] neg_lo:[0,1] neg_hi:[0,1]
	v_pk_add_f32 v[32:33], v[32:33], v[60:61] op_sel:[0,1] op_sel_hi:[1,0]
	v_pk_add_f32 v[34:35], v[34:35], v[58:59]
	v_mov_b32_e32 v56, v32
	v_mov_b32_e32 v57, v63
	;; [unrolled: 1-line block ×3, first 2 shown]
	ds_write2_b64 v3, v[34:35], v[56:57] offset0:64 offset1:224
	ds_write_b64 v159, v[62:63] offset:10240
	s_and_saveexec_b64 s[14:15], s[2:3]
	s_cbranch_execz .LBB0_11
; %bb.10:
	v_mov_b32_e32 v32, v168
	v_mov_b32_e32 v33, v81
	v_add_u32_e32 v3, 0x1c00, v161
	ds_write2_b64 v3, v[118:119], v[32:33] offset0:64 offset1:224
	v_mov_b32_e32 v32, v80
	v_mov_b32_e32 v33, v169
	ds_write_b64 v161, v[32:33] offset:10240
.LBB0_11:
	s_or_b64 exec, exec, s[14:15]
	v_add_u32_e32 v3, 0x800, v122
	s_waitcnt lgkmcnt(0)
	s_barrier
	ds_read2_b64 v[82:85], v3 offset0:104 offset1:224
	v_add_u32_e32 v3, 0x1c00, v122
	ds_read2_b64 v[112:115], v3 offset0:64 offset1:154
	v_add_u32_e32 v3, 0x1000, v122
	;; [unrolled: 2-line block ×5, first 2 shown]
	ds_read2_b64 v[108:111], v122 offset1:90
	ds_read2_b64 v[86:89], v3 offset0:110 offset1:200
	ds_read_b64 v[170:171], v122 offset:10560
	s_and_saveexec_b64 s[14:15], s[4:5]
	s_xor_b64 s[14:15], exec, s[14:15]
	s_andn2_saveexec_b64 s[14:15], s[14:15]
	s_cbranch_execz .LBB0_13
; %bb.12:
	ds_read_b64 v[32:33], v122 offset:7440
	ds_read_b64 v[80:81], v122 offset:11280
	;; [unrolled: 1-line block ×3, first 2 shown]
	s_waitcnt lgkmcnt(2)
	v_mov_b32_e32 v168, v32
	s_waitcnt lgkmcnt(1)
	v_mov_b32_e32 v169, v81
	v_mov_b32_e32 v81, v33
.LBB0_13:
	s_or_b64 exec, exec, s[14:15]
	v_mov_b32_e32 v3, 0xb40
	v_lshl_add_u64 v[32:33], v[116:117], 4, s[0:1]
	s_movk_i32 s14, 0xffe2
	v_lshl_add_u32 v3, v124, 4, v3
	global_load_dwordx4 v[56:59], v[166:167], off offset:3760
	global_load_dwordx4 v[60:63], v[32:33], off offset:3760
	global_load_dwordx4 v[72:75], v3, s[0:1] offset:3760
	v_lshl_add_u64 v[32:33], v[92:93], 4, s[0:1]
	s_mov_b32 s15, -1
	v_lshlrev_b32_e32 v3, 4, v90
	global_load_dwordx4 v[64:67], v[32:33], off offset:3760
	global_load_dwordx4 v[76:79], v3, s[0:1] offset:3760
	v_lshl_add_u64 v[32:33], v[124:125], 0, s[14:15]
	v_cndmask_b32_e64 v33, v33, v95, s[2:3]
	v_cndmask_b32_e64 v32, v32, v94, s[2:3]
	v_lshl_add_u64 v[32:33], v[32:33], 4, s[0:1]
	global_load_dwordx4 v[32:35], v[32:33], off offset:3760
	s_mov_b32 s14, 0x3f5db3d7
	v_add_u32_e32 v5, 0x1000, v122
	v_add_u32_e32 v3, 0x400, v122
	s_waitcnt vmcnt(5) lgkmcnt(7)
	v_pk_mul_f32 v[90:91], v[84:85], v[56:57] op_sel:[0,1]
	v_mov_b32_e32 v92, v59
	s_waitcnt vmcnt(4) lgkmcnt(1)
	v_pk_mul_f32 v[94:95], v[88:89], v[60:61] op_sel:[0,1]
	v_mov_b32_e32 v116, v63
	v_pk_fma_f32 v[166:167], v[84:85], v[56:57], v[90:91] op_sel:[0,0,1] op_sel_hi:[1,1,0] neg_lo:[0,0,1] neg_hi:[0,0,1]
	v_pk_fma_f32 v[84:85], v[84:85], v[56:57], v[90:91] op_sel:[0,0,1] op_sel_hi:[1,0,0]
	v_pk_mul_f32 v[90:91], v[112:113], v[92:93] op_sel_hi:[1,0]
	s_waitcnt vmcnt(2)
	v_pk_mul_f32 v[92:93], v[86:87], v[64:65] op_sel:[0,1]
	v_mov_b32_e32 v84, v67
	v_pk_fma_f32 v[172:173], v[88:89], v[60:61], v[94:95] op_sel:[0,0,1] op_sel_hi:[1,1,0] neg_lo:[0,0,1] neg_hi:[0,0,1]
	v_pk_fma_f32 v[88:89], v[88:89], v[60:61], v[94:95] op_sel:[0,0,1] op_sel_hi:[1,0,0]
	s_waitcnt lgkmcnt(0)
	v_pk_mul_f32 v[94:95], v[170:171], v[116:117] op_sel_hi:[1,0]
	v_mov_b32_e32 v167, v85
	v_pk_fma_f32 v[116:117], v[112:113], v[58:59], v[90:91] op_sel:[0,0,1] op_sel_hi:[1,1,0] neg_lo:[0,0,1] neg_hi:[0,0,1]
	v_pk_fma_f32 v[90:91], v[112:113], v[58:59], v[90:91] op_sel:[0,0,1] op_sel_hi:[1,0,0]
	v_pk_fma_f32 v[112:113], v[86:87], v[64:65], v[92:93] op_sel:[1,0,0] op_sel_hi:[0,1,1]
	v_pk_fma_f32 v[86:87], v[86:87], v[64:65], v[92:93] op_sel:[1,0,0] op_sel_hi:[0,0,1] neg_lo:[0,0,1] neg_hi:[0,0,1]
	v_pk_mul_f32 v[84:85], v[102:103], v[84:85] op_sel_hi:[1,0]
	v_mov_b32_e32 v173, v89
	v_pk_fma_f32 v[88:89], v[170:171], v[62:63], v[94:95] op_sel:[0,0,1] op_sel_hi:[1,1,0] neg_lo:[0,0,1] neg_hi:[0,0,1]
	v_pk_fma_f32 v[92:93], v[170:171], v[62:63], v[94:95] op_sel:[0,0,1] op_sel_hi:[1,0,0]
	v_mov_b32_e32 v117, v91
	v_pk_fma_f32 v[90:91], v[102:103], v[66:67], v[84:85] op_sel:[1,0,0] op_sel_hi:[0,1,1]
	v_pk_fma_f32 v[84:85], v[102:103], v[66:67], v[84:85] op_sel:[1,0,0] op_sel_hi:[0,0,1] neg_lo:[0,0,1] neg_hi:[0,0,1]
	v_mov_b32_e32 v89, v93
	s_waitcnt vmcnt(0)
	v_pk_mul_f32 v[92:93], v[168:169], v[32:33] op_sel_hi:[0,1]
	v_pk_mul_f32 v[94:95], v[80:81], v[34:35] op_sel_hi:[0,1]
	v_mov_b32_e32 v113, v87
	v_mov_b32_e32 v102, v87
	;; [unrolled: 1-line block ×3, first 2 shown]
	v_pk_add_f32 v[86:87], v[82:83], v[172:173]
	v_mov_b32_e32 v91, v85
	v_pk_fma_f32 v[174:175], v[80:81], v[32:33], v[92:93] op_sel:[1,0,1] op_sel_hi:[1,1,0]
	v_pk_fma_f32 v[92:93], v[80:81], v[32:33], v[92:93] op_sel:[1,0,1] op_sel_hi:[1,1,0] neg_lo:[1,0,0] neg_hi:[1,0,0]
	v_pk_fma_f32 v[176:177], v[168:169], v[34:35], v[94:95] op_sel:[1,0,1] op_sel_hi:[1,1,0]
	v_pk_fma_f32 v[94:95], v[168:169], v[34:35], v[94:95] op_sel:[1,0,1] op_sel_hi:[1,1,0] neg_lo:[1,0,0] neg_hi:[1,0,0]
	v_mov_b32_e32 v168, v85
	v_mov_b32_e32 v169, v90
	v_pk_add_f32 v[84:85], v[172:173], v[88:89]
	v_pk_add_f32 v[172:173], v[172:173], v[88:89] neg_lo:[0,1] neg_hi:[0,1]
	v_pk_add_f32 v[80:81], v[86:87], v[88:89]
	v_mov_b32_e32 v175, v93
	v_pk_add_f32 v[86:87], v[102:103], v[168:169]
	v_pk_add_f32 v[88:89], v[112:113], v[90:91] neg_lo:[0,1] neg_hi:[0,1]
	v_pk_fma_f32 v[82:83], v[84:85], 0.5, v[82:83] op_sel_hi:[1,0,1] neg_lo:[1,0,0] neg_hi:[1,0,0]
	v_pk_mul_f32 v[84:85], v[172:173], s[14:15] op_sel_hi:[1,0]
	v_mov_b32_e32 v90, v93
	v_mov_b32_e32 v91, v174
	;; [unrolled: 1-line block ×5, first 2 shown]
	v_pk_fma_f32 v[86:87], v[86:87], 0.5, v[98:99] op_sel_hi:[1,0,1] neg_lo:[1,0,0] neg_hi:[1,0,0]
	v_pk_add_f32 v[94:95], v[82:83], v[84:85] op_sel:[0,1] op_sel_hi:[1,0] neg_lo:[0,1] neg_hi:[0,1]
	v_pk_add_f32 v[82:83], v[82:83], v[84:85] op_sel:[0,1] op_sel_hi:[1,0]
	v_pk_add_f32 v[84:85], v[90:91], v[92:93]
	v_pk_add_f32 v[170:171], v[108:109], v[166:167]
	v_pk_add_f32 v[112:113], v[174:175], v[176:177] neg_lo:[0,1] neg_hi:[0,1]
	v_pk_add_f32 v[90:91], v[118:119], v[90:91]
	v_pk_fma_f32 v[172:173], v[88:89], s[14:15], v[86:87] op_sel_hi:[1,0,1]
	v_pk_fma_f32 v[86:87], v[88:89], s[14:15], v[86:87] op_sel_hi:[1,0,1] neg_lo:[1,0,0] neg_hi:[1,0,0]
	v_pk_fma_f32 v[118:119], v[84:85], 0.5, v[118:119] op_sel_hi:[1,0,1] neg_lo:[1,0,0] neg_hi:[1,0,0]
	v_mov_b32_e32 v88, v94
	v_mov_b32_e32 v89, v83
	;; [unrolled: 1-line block ×6, first 2 shown]
	v_pk_fma_f32 v[172:173], v[112:113], s[14:15], v[118:119] op_sel_hi:[1,0,1]
	v_pk_fma_f32 v[94:95], v[112:113], s[14:15], v[118:119] op_sel_hi:[1,0,1] neg_lo:[1,0,0] neg_hi:[1,0,0]
	v_pk_add_f32 v[112:113], v[170:171], v[116:117]
	v_pk_add_f32 v[118:119], v[166:167], v[116:117]
	v_pk_add_f32 v[116:117], v[166:167], v[116:117] neg_lo:[0,1] neg_hi:[0,1]
	v_pk_fma_f32 v[108:109], v[118:119], 0.5, v[108:109] op_sel_hi:[1,0,1] neg_lo:[1,0,0] neg_hi:[1,0,0]
	v_pk_mul_f32 v[116:117], v[116:117], s[14:15] op_sel_hi:[1,0]
	v_pk_add_f32 v[98:99], v[98:99], v[102:103]
	v_pk_add_f32 v[118:119], v[108:109], v[116:117] op_sel:[0,1] op_sel_hi:[1,0]
	v_pk_add_f32 v[108:109], v[108:109], v[116:117] op_sel:[0,1] op_sel_hi:[1,0] neg_lo:[0,1] neg_hi:[0,1]
	v_mov_b32_e32 v116, v118
	v_mov_b32_e32 v117, v109
	v_mov_b32_e32 v109, v119
	ds_write_b64 v122, v[108:109] offset:7680
	v_pk_mul_f32 v[108:109], v[104:105], v[76:77] op_sel:[0,1]
	ds_write_b64 v122, v[116:117] offset:3840
	v_pk_fma_f32 v[116:117], v[104:105], v[76:77], v[108:109] op_sel:[0,0,1] op_sel_hi:[1,1,0] neg_lo:[0,0,1] neg_hi:[0,0,1]
	v_pk_fma_f32 v[104:105], v[104:105], v[76:77], v[108:109] op_sel:[0,0,1] op_sel_hi:[1,0,0]
	v_pk_add_f32 v[98:99], v[98:99], v[168:169]
	v_mov_b32_e32 v104, v79
	v_mov_b32_e32 v117, v105
	v_pk_mul_f32 v[104:105], v[114:115], v[104:105] op_sel_hi:[1,0]
	v_pk_add_f32 v[90:91], v[90:91], v[92:93]
	v_pk_fma_f32 v[108:109], v[114:115], v[78:79], v[104:105] op_sel:[0,0,1] op_sel_hi:[1,1,0] neg_lo:[0,0,1] neg_hi:[0,0,1]
	v_pk_fma_f32 v[104:105], v[114:115], v[78:79], v[104:105] op_sel:[0,0,1] op_sel_hi:[1,0,0]
	v_mov_b32_e32 v92, v172
	v_mov_b32_e32 v109, v105
	v_pk_add_f32 v[104:105], v[110:111], v[116:117]
	v_mov_b32_e32 v93, v95
	v_pk_add_f32 v[104:105], v[104:105], v[108:109]
	ds_write2_b64 v122, v[112:113], v[104:105] offset1:90
	v_pk_add_f32 v[104:105], v[116:117], v[108:109]
	v_pk_add_f32 v[108:109], v[116:117], v[108:109] neg_lo:[0,1] neg_hi:[0,1]
	v_pk_fma_f32 v[104:105], v[104:105], 0.5, v[110:111] op_sel_hi:[1,0,1] neg_lo:[1,0,0] neg_hi:[1,0,0]
	v_pk_mul_f32 v[108:109], v[108:109], s[14:15] op_sel_hi:[1,0]
	v_mov_b32_e32 v95, v173
	v_pk_add_f32 v[110:111], v[104:105], v[108:109] op_sel:[0,1] op_sel_hi:[1,0]
	v_pk_add_f32 v[104:105], v[104:105], v[108:109] op_sel:[0,1] op_sel_hi:[1,0] neg_lo:[0,1] neg_hi:[0,1]
	v_mov_b32_e32 v108, v110
	v_mov_b32_e32 v109, v105
	;; [unrolled: 1-line block ×3, first 2 shown]
	ds_write_b64 v122, v[104:105] offset:8400
	v_pk_mul_f32 v[104:105], v[106:107], v[72:73] op_sel:[0,1]
	s_nop 0
	v_pk_fma_f32 v[110:111], v[106:107], v[72:73], v[104:105] op_sel:[0,0,1] op_sel_hi:[1,1,0] neg_lo:[0,0,1] neg_hi:[0,0,1]
	v_pk_fma_f32 v[104:105], v[106:107], v[72:73], v[104:105] op_sel:[0,0,1] op_sel_hi:[1,0,0]
	s_nop 0
	v_mov_b32_e32 v104, v75
	v_mov_b32_e32 v111, v105
	v_pk_mul_f32 v[104:105], v[100:101], v[104:105] op_sel_hi:[1,0]
	s_nop 0
	v_pk_fma_f32 v[106:107], v[100:101], v[74:75], v[104:105] op_sel:[0,0,1] op_sel_hi:[1,1,0] neg_lo:[0,0,1] neg_hi:[0,0,1]
	v_pk_fma_f32 v[100:101], v[100:101], v[74:75], v[104:105] op_sel:[0,0,1] op_sel_hi:[1,0,0]
	s_nop 0
	v_mov_b32_e32 v107, v101
	v_pk_add_f32 v[104:105], v[110:111], v[106:107]
	v_pk_add_f32 v[100:101], v[96:97], v[110:111]
	v_pk_fma_f32 v[96:97], v[104:105], 0.5, v[96:97] op_sel_hi:[1,0,1] neg_lo:[1,0,0] neg_hi:[1,0,0]
	v_pk_add_f32 v[104:105], v[110:111], v[106:107] neg_lo:[0,1] neg_hi:[0,1]
	v_pk_add_f32 v[100:101], v[100:101], v[106:107]
	v_pk_mul_f32 v[104:105], v[104:105], s[14:15] op_sel_hi:[1,0]
	s_movk_i32 s15, 0x1000
	v_pk_add_f32 v[106:107], v[96:97], v[104:105] op_sel:[0,1] op_sel_hi:[1,0]
	v_pk_add_f32 v[96:97], v[96:97], v[104:105] op_sel:[0,1] op_sel_hi:[1,0] neg_lo:[0,1] neg_hi:[0,1]
	v_mov_b32_e32 v104, v106
	v_mov_b32_e32 v105, v97
	ds_write2_b64 v5, v[108:109], v[104:105] offset0:58 offset1:148
	v_mov_b32_e32 v97, v107
	ds_write2_b64 v3, v[100:101], v[98:99] offset0:52 offset1:142
	v_add_u32_e32 v3, 0x2000, v122
	s_movk_i32 s14, 0x2000
	ds_write2_b64 v3, v[96:97], v[86:87] offset0:116 offset1:206
	ds_write_b64 v122, v[80:81] offset:2880
	v_add_u32_e32 v3, 0x1400, v122
	ds_write2_b64 v3, v[84:85], v[82:83] offset0:110 offset1:200
	ds_write_b64 v122, v[88:89] offset:10560
	s_and_saveexec_b64 s[0:1], s[2:3]
	s_cbranch_execz .LBB0_15
; %bb.14:
	ds_write_b64 v122, v[90:91] offset:3600
	ds_write_b64 v122, v[92:93] offset:7440
	;; [unrolled: 1-line block ×3, first 2 shown]
.LBB0_15:
	s_or_b64 exec, exec, s[0:1]
	s_add_u32 s0, s16, 0x2d00
	s_addc_u32 s1, s17, 0
	v_lshlrev_b32_e32 v102, 3, v124
	s_waitcnt lgkmcnt(0)
	s_barrier
	global_load_dwordx2 v[104:105], v102, s[0:1]
	ds_read2_b64 v[98:101], v122 offset1:144
	v_mov_b32_e32 v103, 0
	v_lshl_add_u64 v[96:97], s[0:1], 0, v[102:103]
	s_waitcnt vmcnt(0) lgkmcnt(0)
	v_mul_f32_e32 v3, v99, v105
	v_mul_f32_e32 v107, v98, v105
	v_fma_f32 v106, v98, v104, -v3
	v_fmac_f32_e32 v107, v99, v104
	global_load_dwordx2 v[98:99], v102, s[0:1] offset:1152
	s_waitcnt vmcnt(0)
	v_mul_f32_e32 v3, v101, v99
	v_mul_f32_e32 v105, v100, v99
	v_fma_f32 v104, v100, v98, -v3
	v_fmac_f32_e32 v105, v101, v98
	ds_write2_b64 v122, v[106:107], v[104:105] offset1:144
	global_load_dwordx2 v[104:105], v102, s[0:1] offset:2304
	v_add_u32_e32 v3, 0x800, v122
	ds_read2_b64 v[98:101], v3 offset0:32 offset1:176
	s_waitcnt vmcnt(0) lgkmcnt(0)
	v_mul_f32_e32 v7, v99, v105
	v_mul_f32_e32 v107, v98, v105
	v_fma_f32 v106, v98, v104, -v7
	v_fmac_f32_e32 v107, v99, v104
	global_load_dwordx2 v[98:99], v102, s[0:1] offset:3456
	s_waitcnt vmcnt(0)
	v_mul_f32_e32 v7, v101, v99
	v_mul_f32_e32 v103, v100, v99
	v_fma_f32 v102, v100, v98, -v7
	v_fmac_f32_e32 v103, v101, v98
	v_add_co_u32_e32 v98, vcc, s15, v96
	ds_write2_b64 v3, v[106:107], v[102:103] offset0:32 offset1:176
	s_nop 0
	v_addc_co_u32_e32 v99, vcc, 0, v97, vcc
	global_load_dwordx2 v[104:105], v[98:99], off offset:512
	ds_read2_b64 v[100:103], v5 offset0:64 offset1:208
	s_waitcnt vmcnt(0) lgkmcnt(0)
	v_mul_f32_e32 v7, v101, v105
	v_mul_f32_e32 v107, v100, v105
	v_fma_f32 v106, v100, v104, -v7
	v_fmac_f32_e32 v107, v101, v104
	global_load_dwordx2 v[100:101], v[98:99], off offset:1664
	s_waitcnt vmcnt(0)
	v_mul_f32_e32 v7, v103, v101
	v_mul_f32_e32 v105, v102, v101
	v_fma_f32 v104, v102, v100, -v7
	v_fmac_f32_e32 v105, v103, v100
	ds_write2_b64 v5, v[106:107], v[104:105] offset0:64 offset1:208
	global_load_dwordx2 v[104:105], v[98:99], off offset:2816
	v_add_u32_e32 v5, 0x1800, v122
	ds_read2_b64 v[100:103], v5 offset0:96 offset1:240
	s_waitcnt vmcnt(0) lgkmcnt(0)
	v_mul_f32_e32 v7, v101, v105
	v_mul_f32_e32 v107, v100, v105
	v_fma_f32 v106, v100, v104, -v7
	v_fmac_f32_e32 v107, v101, v104
	global_load_dwordx2 v[100:101], v[98:99], off offset:3968
	s_waitcnt vmcnt(0)
	v_mul_f32_e32 v7, v103, v101
	v_mul_f32_e32 v105, v102, v101
	v_fma_f32 v104, v102, v100, -v7
	v_fmac_f32_e32 v105, v103, v100
	ds_write2_b64 v5, v[106:107], v[104:105] offset0:96 offset1:240
	global_load_dwordx2 v[104:105], v151, s[0:1]
	v_add_u32_e32 v7, 0x2400, v122
	ds_read2_b64 v[100:103], v7 offset1:144
	s_waitcnt vmcnt(0) lgkmcnt(0)
	v_mul_f32_e32 v9, v101, v105
	v_fma_f32 v106, v100, v104, -v9
	v_mul_f32_e32 v107, v100, v105
	v_add_co_u32_e32 v100, vcc, 0x2000, v96
	v_fmac_f32_e32 v107, v101, v104
	s_nop 0
	v_addc_co_u32_e32 v101, vcc, 0, v97, vcc
	global_load_dwordx2 v[100:101], v[100:101], off offset:2176
	s_waitcnt vmcnt(0)
	v_mul_f32_e32 v9, v103, v101
	v_mul_f32_e32 v105, v102, v101
	v_fma_f32 v104, v102, v100, -v9
	v_fmac_f32_e32 v105, v103, v100
	ds_write2_b64 v7, v[106:107], v[104:105] offset1:144
	s_and_saveexec_b64 s[0:1], s[6:7]
	s_cbranch_execz .LBB0_17
; %bb.16:
	global_load_dwordx2 v[104:105], v[96:97], off offset:720
	ds_read2_b64 v[100:103], v122 offset0:90 offset1:234
	s_waitcnt vmcnt(0) lgkmcnt(0)
	v_mul_f32_e32 v9, v101, v105
	v_mul_f32_e32 v107, v100, v105
	v_fma_f32 v106, v100, v104, -v9
	v_fmac_f32_e32 v107, v101, v104
	global_load_dwordx2 v[100:101], v[96:97], off offset:1872
	s_waitcnt vmcnt(0)
	v_mul_f32_e32 v9, v103, v101
	v_mul_f32_e32 v105, v102, v101
	v_fma_f32 v104, v102, v100, -v9
	v_fmac_f32_e32 v105, v103, v100
	ds_write2_b64 v122, v[106:107], v[104:105] offset0:90 offset1:234
	global_load_dwordx2 v[104:105], v[96:97], off offset:3024
	v_add_u32_e32 v9, 0xa00, v122
	ds_read2_b64 v[100:103], v9 offset0:58 offset1:202
	s_waitcnt vmcnt(0) lgkmcnt(0)
	v_mul_f32_e32 v11, v101, v105
	v_mul_f32_e32 v107, v100, v105
	v_fma_f32 v106, v100, v104, -v11
	v_fmac_f32_e32 v107, v101, v104
	global_load_dwordx2 v[100:101], v[98:99], off offset:80
	s_waitcnt vmcnt(0)
	v_mul_f32_e32 v11, v103, v101
	v_mul_f32_e32 v105, v102, v101
	v_fma_f32 v104, v102, v100, -v11
	v_fmac_f32_e32 v105, v103, v100
	ds_write2_b64 v9, v[106:107], v[104:105] offset0:58 offset1:202
	global_load_dwordx2 v[104:105], v[98:99], off offset:1232
	v_add_u32_e32 v9, 0x1400, v122
	ds_read2_b64 v[100:103], v9 offset0:26 offset1:170
	s_waitcnt vmcnt(0) lgkmcnt(0)
	v_mul_f32_e32 v11, v101, v105
	v_mul_f32_e32 v107, v100, v105
	v_fma_f32 v106, v100, v104, -v11
	v_fmac_f32_e32 v107, v101, v104
	global_load_dwordx2 v[100:101], v[98:99], off offset:2384
	s_waitcnt vmcnt(0)
	v_mul_f32_e32 v11, v103, v101
	global_load_dwordx2 v[98:99], v[98:99], off offset:3536
	v_mul_f32_e32 v105, v102, v101
	v_fma_f32 v104, v102, v100, -v11
	v_fmac_f32_e32 v105, v103, v100
	ds_write2_b64 v9, v[106:107], v[104:105] offset0:26 offset1:170
	v_add_u32_e32 v9, 0x1c00, v122
	ds_read2_b64 v[100:103], v9 offset0:58 offset1:202
	s_waitcnt vmcnt(0) lgkmcnt(0)
	v_mul_f32_e32 v11, v101, v99
	v_fma_f32 v104, v100, v98, -v11
	v_mul_f32_e32 v105, v100, v99
	v_add_co_u32_e32 v100, vcc, s14, v96
	v_fmac_f32_e32 v105, v101, v98
	s_nop 0
	v_addc_co_u32_e32 v101, vcc, 0, v97, vcc
	global_load_dwordx2 v[96:97], v[100:101], off offset:592
	s_waitcnt vmcnt(0)
	v_mul_f32_e32 v11, v103, v97
	v_mul_f32_e32 v99, v102, v97
	v_fma_f32 v98, v102, v96, -v11
	v_fmac_f32_e32 v99, v103, v96
	global_load_dwordx2 v[102:103], v[100:101], off offset:1744
	ds_write2_b64 v9, v[104:105], v[98:99] offset0:58 offset1:202
	ds_read2_b64 v[96:99], v7 offset0:90 offset1:234
	s_waitcnt vmcnt(0) lgkmcnt(0)
	v_mul_f32_e32 v9, v97, v103
	v_mul_f32_e32 v105, v96, v103
	v_fma_f32 v104, v96, v102, -v9
	v_fmac_f32_e32 v105, v97, v102
	global_load_dwordx2 v[96:97], v[100:101], off offset:2896
	s_waitcnt vmcnt(0)
	v_mul_f32_e32 v9, v99, v97
	v_mul_f32_e32 v101, v98, v97
	v_fma_f32 v100, v98, v96, -v9
	v_fmac_f32_e32 v101, v99, v96
	ds_write2_b64 v7, v[104:105], v[100:101] offset0:90 offset1:234
.LBB0_17:
	s_or_b64 exec, exec, s[0:1]
	s_waitcnt lgkmcnt(0)
	s_barrier
	ds_read2_b64 v[100:103], v122 offset1:144
	ds_read2_b64 v[104:107], v3 offset0:32 offset1:176
	v_add_u32_e32 v3, 0x1000, v122
	ds_read2_b64 v[108:111], v3 offset0:64 offset1:208
	ds_read2_b64 v[112:115], v5 offset0:96 offset1:240
	ds_read2_b64 v[116:119], v7 offset1:144
	s_and_saveexec_b64 s[0:1], s[6:7]
	s_cbranch_execz .LBB0_19
; %bb.18:
	v_add_u32_e32 v3, 0xa00, v122
	ds_read2_b64 v[80:83], v3 offset0:58 offset1:202
	v_add_u32_e32 v3, 0x1400, v122
	ds_read2_b64 v[88:91], v3 offset0:26 offset1:170
	;; [unrolled: 2-line block ×4, first 2 shown]
	ds_read2_b64 v[16:19], v3 offset0:90 offset1:234
.LBB0_19:
	s_or_b64 exec, exec, s[0:1]
	s_waitcnt lgkmcnt(2)
	v_mov_b32_e32 v98, v110
	s_waitcnt lgkmcnt(1)
	v_mov_b32_e32 v99, v114
	v_mov_b32_e32 v176, v106
	s_waitcnt lgkmcnt(0)
	v_mov_b32_e32 v177, v118
	v_mov_b32_e32 v178, v18
	;; [unrolled: 1-line block ×5, first 2 shown]
	v_pk_add_f32 v[98:99], v[98:99], v[176:177] neg_lo:[0,1] neg_hi:[0,1]
	v_pk_add_f32 v[176:177], v[90:91], v[94:95]
	v_pk_add_f32 v[184:185], v[178:179], v[186:187] neg_lo:[0,1] neg_hi:[0,1]
	v_fma_f32 v3, -0.5, v176, v86
	v_mov_b32_e32 v176, v185
	v_pk_add_f32 v[182:183], v[90:91], v[94:95] neg_lo:[0,1] neg_hi:[0,1]
	v_pk_add_f32 v[184:185], v[184:185], v[176:177]
	s_mov_b32 s14, 0x3e9e377a
	v_pk_add_f32 v[180:181], v[82:83], v[18:19] neg_lo:[0,1] neg_hi:[0,1]
	v_mov_b32_e32 v185, v183
	s_mov_b32 s15, 0x3f167918
	v_pk_add_f32 v[178:179], v[186:187], v[178:179] neg_lo:[0,1] neg_hi:[0,1]
	v_fmamk_f32 v5, v181, 0xbf737871, v3
	v_pk_mul_f32 v[184:185], v[184:185], s[14:15]
	v_mov_b32_e32 v176, v179
	v_sub_f32_e32 v5, v5, v185
	v_pk_add_f32 v[190:191], v[18:19], v[82:83]
	v_pk_add_f32 v[178:179], v[178:179], v[176:177]
	v_add_f32_e32 v200, v184, v5
	v_fma_f32 v5, -0.5, v190, v86
	v_mov_b32_e32 v179, v181
	v_fmamk_f32 v7, v183, 0x3f737871, v5
	v_pk_mul_f32 v[186:187], v[178:179], s[14:15]
	v_pk_add_f32 v[96:97], v[106:107], v[118:119]
	v_sub_f32_e32 v7, v7, v187
	v_add_f32_e32 v220, v186, v7
	v_fma_f32 v7, -0.5, v177, v87
	v_mov_b32_e32 v176, v19
	v_mov_b32_e32 v177, v83
	;; [unrolled: 1-line block ×4, first 2 shown]
	v_fma_f32 v11, -0.5, v96, v102
	v_mov_b32_e32 v96, v99
	v_pk_add_f32 v[188:189], v[176:177], v[178:179] neg_lo:[0,1] neg_hi:[0,1]
	v_pk_add_f32 v[216:217], v[98:99], v[96:97]
	v_fma_f32 v21, -0.5, v97, v103
	v_mov_b32_e32 v96, v111
	v_mov_b32_e32 v97, v115
	;; [unrolled: 1-line block ×5, first 2 shown]
	v_pk_add_f32 v[96:97], v[96:97], v[98:99] neg_lo:[0,1] neg_hi:[0,1]
	v_pk_add_f32 v[188:189], v[188:189], v[190:191]
	v_pk_add_f32 v[176:177], v[178:179], v[176:177] neg_lo:[0,1] neg_hi:[0,1]
	v_mov_b32_e32 v98, v97
	v_mov_b32_e32 v189, v182
	;; [unrolled: 1-line block ×3, first 2 shown]
	v_pk_add_f32 v[218:219], v[96:97], v[98:99]
	v_pk_add_f32 v[96:97], v[92:93], v[88:89]
	v_pk_add_f32 v[98:99], v[80:81], v[16:17] neg_lo:[0,1] neg_hi:[0,1]
	s_mov_b32 s16, 0x3f737871
	v_fmamk_f32 v9, v180, 0x3f737871, v7
	v_pk_mul_f32 v[188:189], v[188:189], s[14:15]
	v_pk_add_f32 v[176:177], v[176:177], v[178:179]
	v_pk_add_f32 v[194:195], v[88:89], v[92:93] neg_lo:[0,1] neg_hi:[0,1]
	v_add_f32_e32 v9, v189, v9
	v_mov_b32_e32 v177, v180
	v_pk_fma_f32 v[96:97], v[96:97], 0.5, v[84:85] op_sel_hi:[1,0,1] neg_lo:[1,0,0] neg_hi:[1,0,0]
	v_pk_mul_f32 v[178:179], v[98:99], s[16:17] op_sel_hi:[1,0]
	s_mov_b32 s20, s15
	v_add_f32_e32 v198, v188, v9
	v_fma_f32 v9, -0.5, v191, v87
	v_pk_mul_f32 v[190:191], v[176:177], s[14:15]
	v_pk_add_f32 v[176:177], v[96:97], v[178:179] op_sel:[0,1] op_sel_hi:[1,0] neg_lo:[0,1] neg_hi:[0,1]
	v_pk_add_f32 v[178:179], v[96:97], v[178:179] op_sel:[0,1] op_sel_hi:[1,0]
	v_pk_mul_f32 v[202:203], v[194:195], s[20:21] op_sel_hi:[1,0]
	v_pk_add_f32 v[192:193], v[80:81], v[88:89] neg_lo:[0,1] neg_hi:[0,1]
	v_pk_add_f32 v[196:197], v[16:17], v[92:93] neg_lo:[0,1] neg_hi:[0,1]
	v_pk_add_f32 v[96:97], v[176:177], v[202:203] op_sel:[0,1] op_sel_hi:[1,0] neg_lo:[0,1] neg_hi:[0,1]
	v_pk_add_f32 v[204:205], v[178:179], v[202:203] op_sel:[0,1] op_sel_hi:[1,0]
	s_mov_b32 s24, 0x3f4f1bbd
	v_mov_b32_e32 v97, v205
	v_pk_add_f32 v[204:205], v[196:197], v[192:193]
	s_mov_b32 s18, s15
	s_mov_b32 s19, s24
	v_pk_fma_f32 v[192:193], v[204:205], s[14:15], v[96:97] op_sel_hi:[1,0,1]
	s_mov_b32 s25, s15
	v_pk_mul_f32 v[96:97], v[198:199], s[18:19] op_sel_hi:[0,1]
	v_pk_fma_f32 v[198:199], v[200:201], s[24:25], v[96:97] neg_lo:[0,0,1] neg_hi:[0,0,1]
	v_pk_fma_f32 v[96:97], v[200:201], s[24:25], v[96:97] op_sel_hi:[0,1,1]
	v_mov_b32_e32 v199, v97
	v_pk_add_f32 v[96:97], v[16:17], v[80:81]
	v_pk_mul_f32 v[196:197], v[194:195], s[16:17] op_sel_hi:[1,0]
	v_pk_fma_f32 v[96:97], v[96:97], 0.5, v[84:85] op_sel_hi:[1,0,1] neg_lo:[1,0,0] neg_hi:[1,0,0]
	v_pk_mul_f32 v[208:209], v[98:99], s[20:21] op_sel_hi:[1,0]
	v_pk_add_f32 v[194:195], v[96:97], v[196:197] op_sel:[0,1] op_sel_hi:[1,0]
	v_pk_add_f32 v[196:197], v[96:97], v[196:197] op_sel:[0,1] op_sel_hi:[1,0] neg_lo:[0,1] neg_hi:[0,1]
	v_fmamk_f32 v23, v182, 0xbf737871, v9
	v_pk_add_f32 v[96:97], v[194:195], v[208:209] op_sel:[0,1] op_sel_hi:[1,0] neg_lo:[0,1] neg_hi:[0,1]
	v_pk_add_f32 v[98:99], v[196:197], v[208:209] op_sel:[0,1] op_sel_hi:[1,0]
	v_pk_add_f32 v[212:213], v[100:101], v[104:105]
	v_add_f32_e32 v23, v191, v23
	v_mov_b32_e32 v97, v99
	v_pk_add_f32 v[98:99], v[88:89], v[80:81] neg_lo:[0,1] neg_hi:[0,1]
	v_pk_add_f32 v[200:201], v[92:93], v[16:17] neg_lo:[0,1] neg_hi:[0,1]
	v_add_f32_e32 v206, v190, v23
	v_pk_add_f32 v[210:211], v[200:201], v[98:99]
	s_mov_b32 s17, s14
	v_pk_add_f32 v[212:213], v[212:213], v[108:109]
	v_pk_add_f32 v[214:215], v[102:103], v[106:107]
	v_pk_fma_f32 v[200:201], v[210:211], s[14:15], v[96:97] op_sel_hi:[1,0,1]
	s_mov_b32 s22, s14
	s_mov_b32 s23, s16
	v_pk_mul_f32 v[96:97], v[206:207], s[16:17] op_sel_hi:[0,1]
	v_pk_add_f32 v[212:213], v[212:213], v[112:113]
	v_pk_fma_f32 v[206:207], v[220:221], s[22:23], v[96:97] neg_lo:[0,0,1] neg_hi:[0,0,1]
	v_pk_fma_f32 v[96:97], v[220:221], s[22:23], v[96:97] op_sel_hi:[0,1,1]
	v_pk_add_f32 v[220:221], v[212:213], v[116:117]
	v_pk_add_f32 v[212:213], v[214:215], v[110:111]
	;; [unrolled: 1-line block ×3, first 2 shown]
	v_pk_add_f32 v[224:225], v[104:105], v[116:117] neg_lo:[0,1] neg_hi:[0,1]
	v_pk_fma_f32 v[214:215], v[214:215], 0.5, v[100:101] op_sel_hi:[1,0,1] neg_lo:[1,0,0] neg_hi:[1,0,0]
	v_pk_mul_f32 v[226:227], v[224:225], s[16:17] op_sel_hi:[1,0]
	v_pk_add_f32 v[228:229], v[108:109], v[112:113] neg_lo:[0,1] neg_hi:[0,1]
	v_pk_add_f32 v[232:233], v[104:105], v[108:109] neg_lo:[0,1] neg_hi:[0,1]
	;; [unrolled: 1-line block ×3, first 2 shown]
	v_pk_mul_f32 v[230:231], v[228:229], s[20:21] op_sel_hi:[1,0]
	v_pk_add_f32 v[232:233], v[232:233], v[234:235]
	v_pk_add_f32 v[234:235], v[214:215], v[226:227] op_sel:[0,1] op_sel_hi:[1,0] neg_lo:[0,1] neg_hi:[0,1]
	v_pk_add_f32 v[214:215], v[214:215], v[226:227] op_sel:[0,1] op_sel_hi:[1,0]
	v_pk_add_f32 v[240:241], v[110:111], v[114:115] neg_lo:[0,1] neg_hi:[0,1]
	v_pk_add_f32 v[226:227], v[214:215], v[230:231] op_sel:[0,1] op_sel_hi:[1,0]
	v_pk_add_f32 v[230:231], v[234:235], v[230:231] op_sel:[0,1] op_sel_hi:[1,0] neg_lo:[0,1] neg_hi:[0,1]
	v_mov_b32_e32 v215, v227
	v_mov_b32_e32 v214, v230
	v_pk_fma_f32 v[234:235], v[232:233], s[14:15], v[214:215] op_sel_hi:[1,0,1]
	v_pk_add_f32 v[214:215], v[110:111], v[114:115]
	v_pk_mul_f32 v[242:243], v[240:241], s[20:21] op_sel_hi:[1,0]
	v_pk_fma_f32 v[102:103], v[214:215], 0.5, v[102:103] op_sel_hi:[1,0,1] neg_lo:[1,0,0] neg_hi:[1,0,0]
	v_pk_add_f32 v[214:215], v[106:107], v[118:119] neg_lo:[0,1] neg_hi:[0,1]
	v_pk_add_f32 v[106:107], v[106:107], v[110:111] neg_lo:[0,1] neg_hi:[0,1]
	v_pk_mul_f32 v[236:237], v[214:215], s[16:17] op_sel_hi:[1,0]
	v_pk_add_f32 v[110:111], v[118:119], v[114:115] neg_lo:[0,1] neg_hi:[0,1]
	v_pk_add_f32 v[238:239], v[102:103], v[236:237] op_sel:[0,1] op_sel_hi:[1,0]
	v_pk_add_f32 v[102:103], v[102:103], v[236:237] op_sel:[0,1] op_sel_hi:[1,0] neg_lo:[0,1] neg_hi:[0,1]
	v_pk_add_f32 v[238:239], v[242:243], v[238:239] op_sel:[1,0] op_sel_hi:[0,1]
	v_pk_add_f32 v[106:107], v[106:107], v[110:111]
	v_pk_add_f32 v[102:103], v[102:103], v[242:243] op_sel:[0,1] op_sel_hi:[1,0] neg_lo:[0,1] neg_hi:[0,1]
	v_pk_fma_f32 v[110:111], v[106:107], s[14:15], v[238:239] op_sel_hi:[1,0,1]
	v_mov_b32_e32 v217, v215
	v_mov_b32_e32 v238, v102
	v_pk_add_f32 v[212:213], v[212:213], v[114:115]
	v_pk_mul_f32 v[114:115], v[216:217], s[14:15]
	v_pk_fma_f32 v[216:217], v[106:107], s[14:15], v[238:239] op_sel_hi:[1,0,1]
	v_mov_b32_e32 v219, v214
	v_pk_mul_f32 v[214:215], v[216:217], s[20:21] op_sel_hi:[1,0]
	v_pk_add_f32 v[222:223], v[212:213], v[118:119]
	v_pk_fma_f32 v[236:237], v[216:217], s[24:25], v[214:215] op_sel:[0,0,1] op_sel_hi:[1,0,0] neg_lo:[0,0,1] neg_hi:[0,0,1]
	v_pk_fma_f32 v[214:215], v[216:217], s[24:25], v[214:215] op_sel:[0,0,1] op_sel_hi:[1,0,0]
	v_pk_add_f32 v[212:213], v[220:221], v[222:223]
	v_mov_b32_e32 v237, v215
	v_pk_add_f32 v[214:215], v[234:235], v[236:237]
	s_barrier
	v_fmamk_f32 v23, v241, 0x3f737871, v11
	v_fmac_f32_e32 v11, 0xbf737871, v241
	ds_write_b128 v133, v[212:215]
	v_pk_add_f32 v[212:213], v[104:105], v[116:117]
	v_pk_add_f32 v[104:105], v[108:109], v[104:105] neg_lo:[0,1] neg_hi:[0,1]
	v_pk_add_f32 v[108:109], v[112:113], v[116:117] neg_lo:[0,1] neg_hi:[0,1]
	v_sub_f32_e32 v23, v23, v115
	v_add_f32_e32 v11, v115, v11
	v_pk_fma_f32 v[100:101], v[212:213], 0.5, v[100:101] op_sel_hi:[1,0,1] neg_lo:[1,0,0] neg_hi:[1,0,0]
	v_pk_add_f32 v[104:105], v[104:105], v[108:109]
	v_pk_mul_f32 v[108:109], v[228:229], s[16:17] op_sel_hi:[1,0]
	v_add_f32_e32 v118, v114, v23
	v_add_f32_e32 v114, v114, v11
	v_pk_fma_f32 v[106:107], v[106:107], s[14:15], v[102:103] op_sel_hi:[1,0,1]
	v_fmamk_f32 v11, v240, 0xbf737871, v21
	v_pk_mul_f32 v[102:103], v[218:219], s[14:15]
	v_pk_mul_f32 v[112:113], v[224:225], s[20:21] op_sel_hi:[1,0]
	v_pk_add_f32 v[116:117], v[100:101], v[108:109] op_sel:[0,1] op_sel_hi:[1,0]
	v_pk_add_f32 v[100:101], v[100:101], v[108:109] op_sel:[0,1] op_sel_hi:[1,0] neg_lo:[0,1] neg_hi:[0,1]
	v_add_f32_e32 v11, v103, v11
	v_fmac_f32_e32 v21, 0x3f737871, v240
	v_pk_add_f32 v[108:109], v[100:101], v[112:113] op_sel:[0,1] op_sel_hi:[1,0]
	v_pk_add_f32 v[112:113], v[116:117], v[112:113] op_sel:[0,1] op_sel_hi:[1,0] neg_lo:[0,1] neg_hi:[0,1]
	v_add_f32_e32 v218, v102, v11
	v_sub_f32_e32 v11, v21, v103
	v_mov_b32_e32 v100, v112
	v_mov_b32_e32 v101, v109
	v_add_f32_e32 v102, v102, v11
	v_pk_fma_f32 v[116:117], v[104:105], s[14:15], v[100:101] op_sel_hi:[1,0,1]
	v_pk_mul_f32 v[100:101], v[218:219], s[16:17] op_sel_hi:[0,1]
	v_pk_fma_f32 v[212:213], v[118:119], s[22:23], v[100:101] neg_lo:[0,0,1] neg_hi:[0,0,1]
	v_pk_fma_f32 v[100:101], v[118:119], s[22:23], v[100:101] op_sel_hi:[0,1,1]
	s_mov_b32 s20, 0xbe9e377a
	s_mov_b32 s21, s16
	v_pk_mul_f32 v[102:103], v[102:103], s[16:17] op_sel_hi:[0,1]
	v_mov_b32_e32 v109, v113
	v_mov_b32_e32 v213, v101
	v_pk_fma_f32 v[114:115], v[114:115], s[20:21], v[102:103] op_sel_hi:[0,1,1] neg_lo:[0,0,1] neg_hi:[0,0,1]
	v_pk_fma_f32 v[104:105], v[104:105], s[14:15], v[108:109] op_sel_hi:[1,0,1]
	v_pk_add_f32 v[100:101], v[116:117], v[212:213]
	v_pk_add_f32 v[102:103], v[104:105], v[114:115]
	ds_write_b128 v133, v[100:103] offset:16
	v_mov_b32_e32 v227, v231
	s_mov_b32 s16, 0xbf4f1bbd
	s_mov_b32 s17, s15
	v_pk_mul_f32 v[100:101], v[106:107], s[18:19] op_sel:[1,0]
	v_pk_fma_f32 v[108:109], v[232:233], s[14:15], v[226:227] op_sel_hi:[1,0,1]
	v_pk_fma_f32 v[106:107], v[110:111], s[16:17], v[100:101] op_sel_hi:[0,1,1] neg_lo:[0,0,1] neg_hi:[0,0,1]
	v_pk_add_f32 v[100:101], v[108:109], v[106:107]
	v_pk_add_f32 v[102:103], v[220:221], v[222:223] neg_lo:[0,1] neg_hi:[0,1]
	v_mov_b32_e32 v207, v97
	ds_write_b128 v133, v[100:103] offset:32
	v_pk_add_f32 v[100:101], v[234:235], v[236:237] neg_lo:[0,1] neg_hi:[0,1]
	v_pk_add_f32 v[102:103], v[116:117], v[212:213] neg_lo:[0,1] neg_hi:[0,1]
	v_mov_b32_e32 v170, v26
	v_mov_b32_e32 v171, v26
	;; [unrolled: 1-line block ×15, first 2 shown]
	s_mov_b32 s0, 0xbf737871
	v_pk_add_f32 v[96:97], v[192:193], v[198:199] neg_lo:[0,1] neg_hi:[0,1]
	v_pk_add_f32 v[98:99], v[200:201], v[206:207] neg_lo:[0,1] neg_hi:[0,1]
	ds_write_b128 v133, v[100:103] offset:48
	v_pk_add_f32 v[100:101], v[104:105], v[114:115] neg_lo:[0,1] neg_hi:[0,1]
	v_pk_add_f32 v[102:103], v[108:109], v[106:107] neg_lo:[0,1] neg_hi:[0,1]
	ds_write_b128 v133, v[100:103] offset:64
	s_and_saveexec_b64 s[18:19], s[6:7]
	s_cbranch_execz .LBB0_21
; %bb.20:
	v_mul_f32_e32 v11, 0x3f737871, v181
	v_add_f32_e32 v3, v11, v3
	v_mul_f32_e32 v23, 0x3f737871, v180
	v_add_f32_e32 v3, v185, v3
	v_add_f32_e32 v108, v184, v3
	v_sub_f32_e32 v3, v7, v23
	v_pk_add_f32 v[80:81], v[80:81], v[84:85]
	v_mul_f32_e32 v21, 0x3f737871, v183
	v_sub_f32_e32 v3, v3, v189
	v_pk_add_f32 v[80:81], v[88:89], v[80:81]
	v_add_f32_e32 v110, v188, v3
	v_sub_f32_e32 v3, v5, v21
	v_pk_add_f32 v[82:83], v[82:83], v[86:87]
	v_pk_add_f32 v[80:81], v[92:93], v[80:81]
	v_mul_f32_e32 v109, 0x3f737871, v182
	v_add_f32_e32 v3, v187, v3
	v_pk_add_f32 v[80:81], v[16:17], v[80:81]
	v_pk_add_f32 v[16:17], v[90:91], v[82:83]
	v_add_f32_e32 v112, v186, v3
	v_add_f32_e32 v3, v109, v9
	v_pk_add_f32 v[16:17], v[94:95], v[16:17]
	v_sub_f32_e32 v3, v3, v191
	v_pk_add_f32 v[82:83], v[18:19], v[16:17]
	v_mov_b32_e32 v104, v209
	v_mov_b32_e32 v105, v208
	v_add_f32_e32 v114, v190, v3
	v_lshlrev_b32_e32 v3, 3, v153
	v_pk_add_f32 v[16:17], v[82:83], v[80:81]
	v_pk_add_f32 v[18:19], v[192:193], v[198:199]
	ds_write_b128 v3, v[16:19]
	v_pk_add_f32 v[18:19], v[196:197], v[104:105]
	v_pk_add_f32 v[84:85], v[194:195], v[104:105] neg_lo:[0,1] neg_hi:[0,1]
	v_pk_mul_f32 v[106:107], v[210:211], s[14:15] op_sel_hi:[1,0]
	v_mov_b32_e32 v19, v85
	s_mov_b32 s1, s20
	v_pk_add_f32 v[84:85], v[106:107], v[18:19]
	v_pk_mul_f32 v[18:19], v[114:115], s[0:1] op_sel_hi:[0,1]
	v_pk_fma_f32 v[86:87], v[112:113], s[20:21], v[18:19] op_sel_hi:[0,1,1]
	v_mov_b32_e32 v100, v203
	v_mov_b32_e32 v101, v202
	v_pk_add_f32 v[16:17], v[200:201], v[206:207]
	v_pk_add_f32 v[18:19], v[84:85], v[86:87]
	ds_write_b128 v3, v[16:19] offset:16
	v_pk_add_f32 v[16:17], v[178:179], v[100:101]
	v_pk_add_f32 v[18:19], v[176:177], v[100:101] neg_lo:[0,1] neg_hi:[0,1]
	v_pk_mul_f32 v[102:103], v[204:205], s[14:15] op_sel_hi:[1,0]
	v_mov_b32_e32 v17, v19
	s_mov_b32 s0, 0xbf167918
	s_mov_b32 s1, s16
	v_pk_add_f32 v[88:89], v[102:103], v[16:17]
	v_pk_mul_f32 v[16:17], v[110:111], s[0:1] op_sel_hi:[0,1]
	v_pk_fma_f32 v[90:91], v[108:109], s[16:17], v[16:17] op_sel_hi:[0,1,1]
	v_pk_add_f32 v[16:17], v[88:89], v[90:91]
	v_pk_add_f32 v[18:19], v[80:81], v[82:83] neg_lo:[0,1] neg_hi:[0,1]
	ds_write_b128 v3, v[16:19] offset:32
	ds_write_b128 v3, v[96:99] offset:48
	v_pk_add_f32 v[16:17], v[84:85], v[86:87] neg_lo:[0,1] neg_hi:[0,1]
	v_pk_add_f32 v[18:19], v[88:89], v[90:91] neg_lo:[0,1] neg_hi:[0,1]
	ds_write_b128 v3, v[16:19] offset:64
.LBB0_21:
	s_or_b64 exec, exec, s[18:19]
	s_waitcnt lgkmcnt(0)
	s_barrier
	ds_read2_b64 v[16:19], v122 offset1:90
	v_mov_b32_e32 v80, v44
	v_mov_b32_e32 v81, v44
	v_add_u32_e32 v44, 0x400, v122
	ds_read2_b64 v[102:105], v44 offset0:52 offset1:142
	v_add_u32_e32 v125, 0x800, v122
	s_waitcnt lgkmcnt(1)
	v_pk_mul_f32 v[118:119], v[154:155], v[18:19] op_sel_hi:[0,1]
	ds_read2_b64 v[106:109], v125 offset0:104 offset1:194
	v_pk_fma_f32 v[188:189], v[4:5], v[18:19], v[118:119] op_sel:[0,0,1] op_sel_hi:[1,1,0]
	v_pk_fma_f32 v[4:5], v[4:5], v[18:19], v[118:119] op_sel:[0,0,1] op_sel_hi:[0,1,0] neg_lo:[0,0,1] neg_hi:[0,0,1]
	v_mov_b32_e32 v189, v5
	s_waitcnt lgkmcnt(1)
	v_pk_mul_f32 v[4:5], v[156:157], v[102:103] op_sel_hi:[0,1]
	v_pk_fma_f32 v[18:19], v[6:7], v[102:103], v[4:5] op_sel:[0,0,1] op_sel_hi:[1,1,0]
	v_pk_fma_f32 v[4:5], v[6:7], v[102:103], v[4:5] op_sel:[0,0,1] op_sel_hi:[0,1,0] neg_lo:[0,0,1] neg_hi:[0,0,1]
	v_add_u32_e32 v133, 0x1000, v122
	v_mov_b32_e32 v19, v5
	v_pk_mul_f32 v[4:5], v[24:25], v[104:105]
	ds_read2_b64 v[110:113], v133 offset0:28 offset1:118
	v_pk_fma_f32 v[6:7], v[174:175], v[104:105], v[4:5] op_sel:[0,0,1] op_sel_hi:[1,1,0]
	v_pk_fma_f32 v[4:5], v[174:175], v[104:105], v[4:5] op_sel:[0,0,1] op_sel_hi:[1,1,0] neg_lo:[0,0,1] neg_hi:[0,0,1]
	v_add_u32_e32 v151, 0x1400, v122
	v_mov_b32_e32 v7, v5
	s_waitcnt lgkmcnt(1)
	v_pk_mul_f32 v[4:5], v[26:27], v[106:107]
	ds_read2_b64 v[114:117], v151 offset0:80 offset1:170
	v_pk_fma_f32 v[24:25], v[170:171], v[106:107], v[4:5] op_sel:[0,0,1] op_sel_hi:[1,1,0]
	v_pk_fma_f32 v[4:5], v[170:171], v[106:107], v[4:5] op_sel:[0,0,1] op_sel_hi:[1,1,0] neg_lo:[0,0,1] neg_hi:[0,0,1]
	v_add_u32_e32 v3, 0x1800, v122
	v_mov_b32_e32 v25, v5
	v_pk_mul_f32 v[4:5], v[150:151], v[108:109] op_sel_hi:[0,1]
	v_add_u32_e32 v153, 0x2000, v122
	v_pk_fma_f32 v[26:27], v[0:1], v[108:109], v[4:5] op_sel:[0,0,1] op_sel_hi:[1,1,0]
	v_pk_fma_f32 v[4:5], v[0:1], v[108:109], v[4:5] op_sel:[0,0,1] op_sel_hi:[0,1,0] neg_lo:[0,0,1] neg_hi:[0,0,1]
	ds_read2_b64 v[176:179], v3 offset0:132 offset1:222
	v_add_u32_e32 v3, 0x2400, v122
	v_mov_b32_e32 v27, v5
	s_waitcnt lgkmcnt(2)
	v_pk_mul_f32 v[4:5], v[152:153], v[110:111] op_sel_hi:[0,1]
	ds_read2_b64 v[184:187], v3 offset0:108 offset1:198
	v_pk_fma_f32 v[102:103], v[2:3], v[110:111], v[4:5] op_sel:[0,0,1] op_sel_hi:[1,1,0]
	v_pk_fma_f32 v[2:3], v[2:3], v[110:111], v[4:5] op_sel:[0,0,1] op_sel_hi:[0,1,0] neg_lo:[0,0,1] neg_hi:[0,0,1]
	v_mov_b32_e32 v103, v3
	v_pk_mul_f32 v[2:3], v[28:29], v[112:113]
	ds_read2_b64 v[180:183], v153 offset0:56 offset1:146
	v_pk_fma_f32 v[4:5], v[172:173], v[112:113], v[2:3] op_sel:[0,0,1] op_sel_hi:[1,1,0]
	v_pk_fma_f32 v[2:3], v[172:173], v[112:113], v[2:3] op_sel:[0,0,1] op_sel_hi:[1,1,0] neg_lo:[0,0,1] neg_hi:[0,0,1]
	s_mov_b32 s0, 0x3f3504f3
	v_mov_b32_e32 v5, v3
	s_waitcnt lgkmcnt(3)
	v_pk_mul_f32 v[2:3], v[30:31], v[114:115]
	s_mov_b32 s14, 0x3f6c835e
	v_pk_fma_f32 v[28:29], v[168:169], v[114:115], v[2:3] op_sel:[0,0,1] op_sel_hi:[1,1,0]
	v_pk_fma_f32 v[2:3], v[168:169], v[114:115], v[2:3] op_sel:[0,0,1] op_sel_hi:[1,1,0] neg_lo:[0,0,1] neg_hi:[0,0,1]
	s_mov_b32 s16, 0x3ec3ef15
	v_mov_b32_e32 v29, v3
	v_pk_mul_f32 v[2:3], v[160:161], v[116:117] op_sel_hi:[0,1]
	v_pk_fma_f32 v[30:31], v[20:21], v[116:117], v[2:3] op_sel:[0,0,1] op_sel_hi:[1,1,0]
	v_pk_fma_f32 v[2:3], v[20:21], v[116:117], v[2:3] op_sel:[0,0,1] op_sel_hi:[0,1,0] neg_lo:[0,0,1] neg_hi:[0,0,1]
	v_mov_b32_e32 v31, v3
	s_waitcnt lgkmcnt(2)
	v_pk_mul_f32 v[2:3], v[164:165], v[176:177] op_sel_hi:[0,1]
	v_pk_fma_f32 v[20:21], v[22:23], v[176:177], v[2:3] op_sel:[0,0,1] op_sel_hi:[1,1,0]
	v_pk_fma_f32 v[2:3], v[22:23], v[176:177], v[2:3] op_sel:[0,0,1] op_sel_hi:[0,1,0] neg_lo:[0,0,1] neg_hi:[0,0,1]
	v_mov_b32_e32 v21, v3
	v_pk_mul_f32 v[2:3], v[12:13], v[178:179] op_sel:[1,0]
	v_pk_add_f32 v[20:21], v[18:19], v[20:21] neg_lo:[0,1] neg_hi:[0,1]
	v_pk_fma_f32 v[22:23], v[12:13], v[178:179], v[2:3] op_sel:[0,0,1] op_sel_hi:[1,1,0]
	v_pk_fma_f32 v[2:3], v[12:13], v[178:179], v[2:3] op_sel:[0,0,1] op_sel_hi:[0,1,0] neg_lo:[0,0,1] neg_hi:[0,0,1]
	v_mov_b32_e32 v23, v3
	s_waitcnt lgkmcnt(0)
	v_pk_mul_f32 v[2:3], v[14:15], v[180:181]
	v_pk_add_f32 v[30:31], v[188:189], v[30:31] neg_lo:[0,1] neg_hi:[0,1]
	v_pk_fma_f32 v[12:13], v[166:167], v[180:181], v[2:3] op_sel:[0,0,1] op_sel_hi:[1,1,0]
	v_pk_fma_f32 v[2:3], v[166:167], v[180:181], v[2:3] op_sel:[0,0,1] op_sel_hi:[1,1,0] neg_lo:[0,0,1] neg_hi:[0,0,1]
	v_pk_add_f32 v[22:23], v[6:7], v[22:23] neg_lo:[0,1] neg_hi:[0,1]
	v_mov_b32_e32 v13, v3
	v_pk_mul_f32 v[2:3], v[158:159], v[182:183] op_sel_hi:[0,1]
	v_pk_fma_f32 v[14:15], v[8:9], v[182:183], v[2:3] op_sel:[0,0,1] op_sel_hi:[1,1,0]
	v_pk_fma_f32 v[2:3], v[8:9], v[182:183], v[2:3] op_sel:[0,0,1] op_sel_hi:[0,1,0] neg_lo:[0,0,1] neg_hi:[0,0,1]
	v_mov_b32_e32 v15, v3
	v_pk_mul_f32 v[2:3], v[162:163], v[184:185] op_sel_hi:[0,1]
	v_pk_fma_f32 v[8:9], v[10:11], v[184:185], v[2:3] op_sel:[0,0,1] op_sel_hi:[1,1,0]
	v_pk_fma_f32 v[2:3], v[10:11], v[184:185], v[2:3] op_sel:[0,0,1] op_sel_hi:[0,1,0] neg_lo:[0,0,1] neg_hi:[0,0,1]
	v_mov_b32_e32 v9, v3
	v_pk_mul_f32 v[2:3], v[148:149], v[186:187] op_sel:[1,0]
	v_pk_add_f32 v[12:13], v[24:25], v[12:13] neg_lo:[0,1] neg_hi:[0,1]
	v_pk_fma_f32 v[10:11], v[148:149], v[186:187], v[2:3] op_sel:[0,0,1] op_sel_hi:[1,1,0]
	v_pk_fma_f32 v[2:3], v[148:149], v[186:187], v[2:3] op_sel:[0,0,1] op_sel_hi:[0,1,0] neg_lo:[0,0,1] neg_hi:[0,0,1]
	v_mov_b32_e32 v11, v3
	v_pk_add_f32 v[2:3], v[16:17], v[28:29] neg_lo:[0,1] neg_hi:[0,1]
	v_pk_add_f32 v[8:9], v[102:103], v[8:9] neg_lo:[0,1] neg_hi:[0,1]
	;; [unrolled: 1-line block ×4, first 2 shown]
	v_pk_fma_f32 v[16:17], v[16:17], 2.0, v[2:3] op_sel_hi:[1,0,1] neg_lo:[0,0,1] neg_hi:[0,0,1]
	v_pk_fma_f32 v[24:25], v[24:25], 2.0, v[12:13] op_sel_hi:[1,0,1] neg_lo:[0,0,1] neg_hi:[0,0,1]
	;; [unrolled: 1-line block ×8, first 2 shown]
	v_pk_add_f32 v[24:25], v[16:17], v[24:25] neg_lo:[0,1] neg_hi:[0,1]
	v_pk_add_f32 v[104:105], v[18:19], v[28:29] neg_lo:[0,1] neg_hi:[0,1]
	;; [unrolled: 1-line block ×4, first 2 shown]
	v_pk_fma_f32 v[16:17], v[16:17], 2.0, v[24:25] op_sel_hi:[1,0,1] neg_lo:[0,0,1] neg_hi:[0,0,1]
	v_pk_fma_f32 v[18:19], v[18:19], 2.0, v[104:105] op_sel_hi:[1,0,1] neg_lo:[0,0,1] neg_hi:[0,0,1]
	;; [unrolled: 1-line block ×4, first 2 shown]
	v_pk_add_f32 v[18:19], v[16:17], v[18:19] neg_lo:[0,1] neg_hi:[0,1]
	v_pk_add_f32 v[6:7], v[28:29], v[6:7] neg_lo:[0,1] neg_hi:[0,1]
	v_pk_fma_f32 v[16:17], v[16:17], 2.0, v[18:19] op_sel_hi:[1,0,1] neg_lo:[0,0,1] neg_hi:[0,0,1]
	v_pk_fma_f32 v[28:29], v[28:29], 2.0, v[6:7] op_sel_hi:[1,0,1] neg_lo:[0,0,1] neg_hi:[0,0,1]
	v_pk_add_f32 v[106:107], v[20:21], v[8:9] op_sel:[0,1] op_sel_hi:[1,0]
	v_pk_add_f32 v[8:9], v[20:21], v[8:9] op_sel:[0,1] op_sel_hi:[1,0] neg_lo:[0,1] neg_hi:[0,1]
	v_pk_add_f32 v[102:103], v[16:17], v[28:29] neg_lo:[0,1] neg_hi:[0,1]
	v_pk_add_f32 v[28:29], v[2:3], v[12:13] op_sel:[0,1] op_sel_hi:[1,0]
	v_pk_add_f32 v[12:13], v[2:3], v[12:13] op_sel:[0,1] op_sel_hi:[1,0] neg_lo:[0,1] neg_hi:[0,1]
	v_mov_b32_e32 v107, v9
	v_mov_b32_e32 v29, v13
	v_pk_fma_f32 v[8:9], v[20:21], 2.0, v[106:107] op_sel_hi:[1,0,1] neg_lo:[0,0,1] neg_hi:[0,0,1]
	v_pk_add_f32 v[20:21], v[30:31], v[14:15] op_sel:[0,1] op_sel_hi:[1,0]
	v_pk_add_f32 v[14:15], v[30:31], v[14:15] op_sel:[0,1] op_sel_hi:[1,0] neg_lo:[0,1] neg_hi:[0,1]
	v_pk_add_f32 v[108:109], v[22:23], v[10:11] op_sel:[0,1] op_sel_hi:[1,0]
	v_pk_add_f32 v[10:11], v[22:23], v[10:11] op_sel:[0,1] op_sel_hi:[1,0] neg_lo:[0,1] neg_hi:[0,1]
	v_pk_fma_f32 v[2:3], v[2:3], 2.0, v[28:29] op_sel_hi:[1,0,1] neg_lo:[0,0,1] neg_hi:[0,0,1]
	v_mov_b32_e32 v21, v15
	v_mov_b32_e32 v109, v11
	v_pk_fma_f32 v[30:31], v[30:31], 2.0, v[20:21] op_sel_hi:[1,0,1] neg_lo:[0,0,1] neg_hi:[0,0,1]
	v_pk_fma_f32 v[10:11], v[22:23], 2.0, v[108:109] op_sel_hi:[1,0,1] neg_lo:[0,0,1] neg_hi:[0,0,1]
	v_pk_mul_f32 v[22:23], v[8:9], s[0:1] op_sel_hi:[1,0]
	v_pk_fma_f32 v[8:9], v[8:9], s[0:1], v[2:3] op_sel_hi:[1,0,1] neg_lo:[1,0,0] neg_hi:[1,0,0]
	v_pk_fma_f32 v[16:17], v[16:17], 2.0, v[102:103] op_sel_hi:[1,0,1] neg_lo:[0,0,1] neg_hi:[0,0,1]
	v_pk_add_f32 v[110:111], v[8:9], v[22:23] op_sel:[0,1] op_sel_hi:[1,0]
	v_pk_add_f32 v[8:9], v[8:9], v[22:23] op_sel:[0,1] op_sel_hi:[1,0] neg_lo:[0,1] neg_hi:[0,1]
	v_pk_mul_f32 v[22:23], v[10:11], s[0:1] op_sel_hi:[1,0]
	v_pk_fma_f32 v[10:11], v[10:11], s[0:1], v[30:31] op_sel_hi:[1,0,1] neg_lo:[1,0,0] neg_hi:[1,0,0]
	v_mov_b32_e32 v111, v9
	v_pk_add_f32 v[112:113], v[10:11], v[22:23] op_sel:[0,1] op_sel_hi:[1,0]
	v_pk_add_f32 v[10:11], v[10:11], v[22:23] op_sel:[0,1] op_sel_hi:[1,0] neg_lo:[0,1] neg_hi:[0,1]
	v_pk_fma_f32 v[2:3], v[2:3], 2.0, v[110:111] op_sel_hi:[1,0,1] neg_lo:[0,0,1] neg_hi:[0,0,1]
	v_mov_b32_e32 v113, v11
	v_pk_fma_f32 v[22:23], v[30:31], 2.0, v[112:113] op_sel_hi:[1,0,1] neg_lo:[0,0,1] neg_hi:[0,0,1]
	s_nop 0
	v_pk_fma_f32 v[30:31], v[22:23], s[14:15], v[2:3] op_sel_hi:[1,0,1] neg_lo:[1,0,0] neg_hi:[1,0,0]
	v_pk_mul_f32 v[22:23], v[22:23], s[16:17] op_sel_hi:[1,0]
	s_barrier
	v_pk_add_f32 v[114:115], v[30:31], v[22:23] op_sel:[0,1] op_sel_hi:[1,0]
	v_pk_add_f32 v[22:23], v[30:31], v[22:23] op_sel:[0,1] op_sel_hi:[1,0] neg_lo:[0,1] neg_hi:[0,1]
	v_pk_fma_f32 v[30:31], v[106:107], s[0:1], v[28:29] op_sel_hi:[1,0,1]
	v_fmamk_f32 v22, v112, 0x3ec3ef15, v110
	v_mov_b32_e32 v115, v23
	v_fmamk_f32 v23, v11, 0x3ec3ef15, v9
	v_fmac_f32_e32 v22, 0x3f6c835e, v11
	v_pk_mul_f32 v[10:11], v[106:107], s[0:1] op_sel_hi:[1,0]
	v_pk_fma_f32 v[2:3], v[2:3], 2.0, v[114:115] op_sel_hi:[1,0,1] neg_lo:[0,0,1] neg_hi:[0,0,1]
	v_pk_add_f32 v[106:107], v[30:31], v[10:11] op_sel:[0,1] op_sel_hi:[1,0]
	v_pk_add_f32 v[10:11], v[30:31], v[10:11] op_sel:[0,1] op_sel_hi:[1,0] neg_lo:[0,1] neg_hi:[0,1]
	v_fma_f32 v0, v28, 2.0, -v106
	v_mov_b32_e32 v107, v11
	v_fma_f32 v14, v13, 2.0, -v11
	v_pk_mul_f32 v[10:11], v[108:109], s[0:1] op_sel_hi:[1,0]
	v_pk_fma_f32 v[12:13], v[108:109], s[0:1], v[20:21] op_sel_hi:[1,0,1]
	s_nop 0
	v_pk_add_f32 v[28:29], v[12:13], v[10:11] op_sel:[0,1] op_sel_hi:[1,0]
	v_pk_add_f32 v[10:11], v[12:13], v[10:11] op_sel:[0,1] op_sel_hi:[1,0] neg_lo:[0,1] neg_hi:[0,1]
	v_fma_f32 v12, v20, 2.0, -v28
	v_fma_f32 v13, v15, 2.0, -v11
	v_mov_b32_e32 v29, v11
	v_fmamk_f32 v11, v13, 0xbec3ef15, v14
	v_fmamk_f32 v10, v12, 0xbec3ef15, v0
	v_fmac_f32_e32 v11, 0xbf6c835e, v12
	v_fmac_f32_e32 v10, 0x3f6c835e, v13
	v_fma_f32 v13, v14, 2.0, -v11
	v_pk_fma_f32 v[14:15], v[28:29], s[14:15], v[106:107] op_sel_hi:[1,0,1]
	v_pk_mul_f32 v[20:21], v[28:29], s[16:17] op_sel_hi:[1,0]
	ds_write2_b64 v1, v[16:17], v[2:3] offset1:10
	v_pk_add_f32 v[30:31], v[14:15], v[20:21] op_sel:[0,1] op_sel_hi:[1,0]
	v_pk_add_f32 v[28:29], v[14:15], v[20:21] op_sel:[0,1] op_sel_hi:[1,0] neg_lo:[0,1] neg_hi:[0,1]
	v_pk_add_f32 v[2:3], v[24:25], v[104:105] op_sel:[0,1] op_sel_hi:[1,0]
	v_pk_add_f32 v[14:15], v[24:25], v[104:105] op_sel:[0,1] op_sel_hi:[1,0] neg_lo:[0,1] neg_hi:[0,1]
	;; [unrolled: 2-line block ×3, first 2 shown]
	v_mov_b32_e32 v3, v15
	v_mov_b32_e32 v17, v5
	v_pk_fma_f32 v[14:15], v[24:25], 2.0, v[2:3] op_sel_hi:[1,0,1] neg_lo:[0,0,1] neg_hi:[0,0,1]
	v_pk_fma_f32 v[4:5], v[26:27], 2.0, v[16:17] op_sel_hi:[1,0,1] neg_lo:[0,0,1] neg_hi:[0,0,1]
	v_fma_f32 v12, v0, 2.0, -v10
	v_pk_mul_f32 v[20:21], v[4:5], s[0:1] op_sel_hi:[1,0]
	v_pk_fma_f32 v[4:5], v[4:5], s[0:1], v[14:15] op_sel_hi:[1,0,1] neg_lo:[1,0,0] neg_hi:[1,0,0]
	v_fmac_f32_e32 v23, 0xbf6c835e, v112
	v_pk_add_f32 v[24:25], v[4:5], v[20:21] op_sel:[0,1] op_sel_hi:[1,0]
	v_pk_add_f32 v[4:5], v[4:5], v[20:21] op_sel:[0,1] op_sel_hi:[1,0] neg_lo:[0,1] neg_hi:[0,1]
	v_fma_f32 v8, v110, 2.0, -v22
	v_mov_b32_e32 v25, v5
	v_pk_fma_f32 v[4:5], v[14:15], 2.0, v[24:25] op_sel_hi:[1,0,1] neg_lo:[0,0,1] neg_hi:[0,0,1]
	ds_write2_b64 v1, v[4:5], v[12:13] offset0:20 offset1:30
	v_pk_add_f32 v[4:5], v[18:19], v[6:7] op_sel:[0,1] op_sel_hi:[1,0]
	v_pk_add_f32 v[6:7], v[18:19], v[6:7] op_sel:[0,1] op_sel_hi:[1,0] neg_lo:[0,1] neg_hi:[0,1]
	v_fma_f32 v9, v9, 2.0, -v23
	v_mov_b32_e32 v5, v7
	v_pk_fma_f32 v[6:7], v[18:19], 2.0, v[4:5] op_sel_hi:[1,0,1] neg_lo:[0,0,1] neg_hi:[0,0,1]
	ds_write2_b64 v1, v[6:7], v[8:9] offset0:40 offset1:50
	v_pk_mul_f32 v[6:7], v[16:17], s[0:1] op_sel_hi:[1,0]
	v_pk_fma_f32 v[8:9], v[16:17], s[0:1], v[2:3] op_sel_hi:[1,0,1]
	v_mov_b32_e32 v31, v29
	v_pk_add_f32 v[12:13], v[8:9], v[6:7] op_sel:[0,1] op_sel_hi:[1,0]
	v_pk_add_f32 v[6:7], v[8:9], v[6:7] op_sel:[0,1] op_sel_hi:[1,0] neg_lo:[0,1] neg_hi:[0,1]
	v_mov_b32_e32 v100, v36
	v_mov_b32_e32 v13, v7
	v_pk_fma_f32 v[2:3], v[2:3], 2.0, v[12:13] op_sel_hi:[1,0,1] neg_lo:[0,0,1] neg_hi:[0,0,1]
	v_pk_fma_f32 v[6:7], v[106:107], 2.0, v[30:31] op_sel_hi:[1,0,1] neg_lo:[0,0,1] neg_hi:[0,0,1]
	ds_write2_b64 v1, v[2:3], v[6:7] offset0:60 offset1:70
	ds_write2_b64 v1, v[102:103], v[114:115] offset0:80 offset1:90
	;; [unrolled: 1-line block ×5, first 2 shown]
	v_add_u32_e32 v4, 0x1c00, v122
	s_waitcnt lgkmcnt(0)
	s_barrier
	ds_read2_b64 v[20:23], v122 offset1:90
	ds_read2_b64 v[0:3], v125 offset0:104 offset1:224
	ds_read2_b64 v[24:27], v4 offset0:64 offset1:154
	;; [unrolled: 1-line block ×6, first 2 shown]
	ds_read_b64 v[102:103], v122 offset:10560
	v_mov_b32_e32 v101, v36
	v_mov_b32_e32 v36, v37
	;; [unrolled: 1-line block ×27, first 2 shown]
	s_and_saveexec_b64 s[0:1], s[2:3]
	s_cbranch_execz .LBB0_23
; %bb.22:
	ds_read_b64 v[30:31], v122 offset:3600
	ds_read_b64 v[96:97], v122 offset:7440
	;; [unrolled: 1-line block ×3, first 2 shown]
	s_waitcnt lgkmcnt(2)
	v_mov_b32_e32 v29, v31
.LBB0_23:
	s_or_b64 exec, exec, s[0:1]
	v_mov_b32_e32 v31, v29
	s_waitcnt lgkmcnt(1)
	v_pk_mul_f32 v[28:29], v[40:41], v[96:97] op_sel:[0,1]
	v_pk_mul_f32 v[106:107], v[36:37], v[2:3]
	s_waitcnt lgkmcnt(0)
	v_pk_mul_f32 v[36:37], v[42:43], v[98:99] op_sel:[0,1]
	v_pk_fma_f32 v[108:109], v[40:41], v[96:97], v[28:29] op_sel:[0,0,1] op_sel_hi:[1,1,0]
	v_pk_fma_f32 v[28:29], v[40:41], v[96:97], v[28:29] op_sel:[0,0,1] op_sel_hi:[1,0,0] neg_lo:[1,0,0] neg_hi:[1,0,0]
	v_pk_fma_f32 v[40:41], v[42:43], v[98:99], v[36:37] op_sel:[0,0,1] op_sel_hi:[1,1,0]
	v_mov_b32_e32 v109, v29
	v_pk_fma_f32 v[28:29], v[42:43], v[98:99], v[36:37] op_sel:[0,0,1] op_sel_hi:[1,0,0] neg_lo:[1,0,0] neg_hi:[1,0,0]
	s_mov_b32 s0, 0x3f5db3d7
	v_mov_b32_e32 v41, v29
	v_pk_add_f32 v[36:37], v[108:109], v[40:41]
	v_pk_add_f32 v[28:29], v[30:31], v[108:109]
	v_pk_fma_f32 v[36:37], v[36:37], 0.5, v[30:31] op_sel_hi:[1,0,1] neg_lo:[1,0,0] neg_hi:[1,0,0]
	v_pk_add_f32 v[30:31], v[108:109], v[40:41] neg_lo:[0,1] neg_hi:[0,1]
	v_pk_add_f32 v[28:29], v[28:29], v[40:41]
	v_pk_mul_f32 v[40:41], v[30:31], s[0:1] op_sel_hi:[1,0]
	v_pk_mul_f32 v[38:39], v[38:39], v[24:25]
	v_pk_add_f32 v[30:31], v[40:41], v[36:37] op_sel:[1,0] op_sel_hi:[0,1]
	v_pk_add_f32 v[36:37], v[36:37], v[40:41] op_sel:[0,1] op_sel_hi:[1,0] neg_lo:[0,1] neg_hi:[0,1]
	v_pk_fma_f32 v[40:41], v[100:101], v[2:3], v[106:107] op_sel:[0,0,1] op_sel_hi:[1,1,0]
	v_pk_fma_f32 v[2:3], v[100:101], v[2:3], v[106:107] op_sel:[0,0,1] op_sel_hi:[1,1,0] neg_lo:[0,0,1] neg_hi:[0,0,1]
	v_pk_mul_f32 v[52:53], v[52:53], v[16:17]
	v_mov_b32_e32 v41, v3
	v_pk_fma_f32 v[2:3], v[94:95], v[24:25], v[38:39] op_sel:[0,0,1] op_sel_hi:[1,1,0]
	v_pk_fma_f32 v[24:25], v[94:95], v[24:25], v[38:39] op_sel:[0,0,1] op_sel_hi:[1,1,0] neg_lo:[0,0,1] neg_hi:[0,0,1]
	v_pk_mul_f32 v[54:55], v[54:55], v[26:27]
	v_mov_b32_e32 v3, v25
	v_pk_add_f32 v[24:25], v[40:41], v[2:3]
	v_pk_add_f32 v[38:39], v[40:41], v[2:3] neg_lo:[0,1] neg_hi:[0,1]
	v_pk_fma_f32 v[24:25], v[24:25], 0.5, v[20:21] op_sel_hi:[1,0,1] neg_lo:[1,0,0] neg_hi:[1,0,0]
	v_pk_mul_f32 v[38:39], v[38:39], s[0:1] op_sel_hi:[1,0]
	v_pk_add_f32 v[20:21], v[20:21], v[40:41]
	v_pk_add_f32 v[42:43], v[24:25], v[38:39] op_sel:[0,1] op_sel_hi:[1,0]
	v_pk_add_f32 v[24:25], v[24:25], v[38:39] op_sel:[0,1] op_sel_hi:[1,0] neg_lo:[0,1] neg_hi:[0,1]
	v_pk_add_f32 v[2:3], v[20:21], v[2:3]
	v_mov_b32_e32 v20, v24
	v_mov_b32_e32 v21, v43
	s_barrier
	ds_write2_b64 v122, v[2:3], v[20:21] offset1:160
	v_pk_fma_f32 v[2:3], v[92:93], v[16:17], v[52:53] op_sel:[0,0,1] op_sel_hi:[1,1,0]
	v_pk_fma_f32 v[16:17], v[92:93], v[16:17], v[52:53] op_sel:[0,0,1] op_sel_hi:[1,1,0] neg_lo:[0,0,1] neg_hi:[0,0,1]
	v_pk_fma_f32 v[20:21], v[90:91], v[26:27], v[54:55] op_sel:[0,0,1] op_sel_hi:[1,1,0] neg_lo:[0,0,1] neg_hi:[0,0,1]
	v_mov_b32_e32 v3, v17
	v_pk_fma_f32 v[16:17], v[90:91], v[26:27], v[54:55] op_sel:[0,0,1] op_sel_hi:[1,1,0]
	v_mov_b32_e32 v43, v25
	v_mov_b32_e32 v17, v21
	v_pk_add_f32 v[20:21], v[22:23], v[2:3]
	v_pk_add_f32 v[24:25], v[2:3], v[16:17]
	v_pk_add_f32 v[2:3], v[2:3], v[16:17] neg_lo:[0,1] neg_hi:[0,1]
	v_pk_fma_f32 v[22:23], v[24:25], 0.5, v[22:23] op_sel_hi:[1,0,1] neg_lo:[1,0,0] neg_hi:[1,0,0]
	v_pk_mul_f32 v[2:3], v[2:3], s[0:1] op_sel_hi:[1,0]
	v_pk_add_f32 v[20:21], v[20:21], v[16:17]
	v_pk_add_f32 v[16:17], v[22:23], v[2:3] op_sel:[0,1] op_sel_hi:[1,0] neg_lo:[0,1] neg_hi:[0,1]
	v_pk_add_f32 v[2:3], v[22:23], v[2:3] op_sel:[0,1] op_sel_hi:[1,0]
	v_pk_mul_f32 v[48:49], v[48:49], v[18:19]
	v_mov_b32_e32 v23, v3
	v_mov_b32_e32 v3, v17
	v_pk_mul_f32 v[50:51], v[50:51], v[12:13]
	ds_write_b64 v122, v[42:43] offset:2560
	v_mov_b32_e32 v22, v16
	ds_write_b64 v155, v[2:3] offset:2560
	v_pk_fma_f32 v[2:3], v[88:89], v[18:19], v[48:49] op_sel:[0,0,1] op_sel_hi:[1,1,0]
	v_pk_fma_f32 v[16:17], v[88:89], v[18:19], v[48:49] op_sel:[0,0,1] op_sel_hi:[1,1,0] neg_lo:[0,0,1] neg_hi:[0,0,1]
	ds_write2_b64 v155, v[20:21], v[22:23] offset1:160
	v_mov_b32_e32 v3, v17
	v_pk_fma_f32 v[16:17], v[86:87], v[12:13], v[50:51] op_sel:[0,0,1] op_sel_hi:[1,1,0]
	v_pk_fma_f32 v[12:13], v[86:87], v[12:13], v[50:51] op_sel:[0,0,1] op_sel_hi:[1,1,0] neg_lo:[0,0,1] neg_hi:[0,0,1]
	v_pk_mul_f32 v[68:69], v[68:69], v[4:5]
	v_mov_b32_e32 v17, v13
	v_pk_add_f32 v[12:13], v[2:3], v[16:17]
	v_pk_add_f32 v[18:19], v[2:3], v[16:17] neg_lo:[0,1] neg_hi:[0,1]
	v_pk_fma_f32 v[12:13], v[12:13], 0.5, v[8:9] op_sel_hi:[1,0,1] neg_lo:[1,0,0] neg_hi:[1,0,0]
	v_pk_mul_f32 v[18:19], v[18:19], s[0:1] op_sel_hi:[1,0]
	v_pk_add_f32 v[2:3], v[8:9], v[2:3]
	v_pk_add_f32 v[20:21], v[12:13], v[18:19] op_sel:[0,1] op_sel_hi:[1,0]
	v_pk_add_f32 v[12:13], v[12:13], v[18:19] op_sel:[0,1] op_sel_hi:[1,0] neg_lo:[0,1] neg_hi:[0,1]
	v_pk_add_f32 v[2:3], v[2:3], v[16:17]
	v_mov_b32_e32 v8, v12
	v_mov_b32_e32 v9, v21
	v_add_u32_e32 v12, 0xe00, v122
	v_pk_mul_f32 v[70:71], v[70:71], v[14:15]
	ds_write2_b64 v12, v[2:3], v[8:9] offset0:52 offset1:212
	v_pk_fma_f32 v[2:3], v[84:85], v[4:5], v[68:69] op_sel:[0,0,1] op_sel_hi:[1,1,0]
	v_pk_fma_f32 v[4:5], v[84:85], v[4:5], v[68:69] op_sel:[0,0,1] op_sel_hi:[1,1,0] neg_lo:[0,0,1] neg_hi:[0,0,1]
	v_pk_fma_f32 v[8:9], v[82:83], v[14:15], v[70:71] op_sel:[0,0,1] op_sel_hi:[1,1,0] neg_lo:[0,0,1] neg_hi:[0,0,1]
	v_mov_b32_e32 v3, v5
	v_pk_fma_f32 v[4:5], v[82:83], v[14:15], v[70:71] op_sel:[0,0,1] op_sel_hi:[1,1,0]
	v_mov_b32_e32 v21, v13
	v_mov_b32_e32 v5, v9
	v_pk_add_f32 v[8:9], v[2:3], v[4:5]
	v_pk_add_f32 v[12:13], v[2:3], v[4:5] neg_lo:[0,1] neg_hi:[0,1]
	v_pk_fma_f32 v[8:9], v[8:9], 0.5, v[10:11] op_sel_hi:[1,0,1] neg_lo:[1,0,0] neg_hi:[1,0,0]
	v_pk_mul_f32 v[12:13], v[12:13], s[0:1] op_sel_hi:[1,0]
	v_pk_add_f32 v[2:3], v[10:11], v[2:3]
	v_pk_add_f32 v[14:15], v[8:9], v[12:13] op_sel:[0,1] op_sel_hi:[1,0]
	v_pk_add_f32 v[8:9], v[8:9], v[12:13] op_sel:[0,1] op_sel_hi:[1,0] neg_lo:[0,1] neg_hi:[0,1]
	v_pk_mul_f32 v[44:45], v[44:45], v[6:7]
	v_pk_add_f32 v[2:3], v[2:3], v[4:5]
	v_mov_b32_e32 v4, v8
	v_mov_b32_e32 v5, v15
	v_pk_mul_f32 v[46:47], v[46:47], v[102:103]
	ds_write_b64 v122, v[20:21] offset:6560
	ds_write2_b64 v157, v[2:3], v[4:5] offset1:160
	v_pk_fma_f32 v[2:3], v[80:81], v[6:7], v[44:45] op_sel:[0,0,1] op_sel_hi:[1,1,0]
	v_pk_fma_f32 v[4:5], v[80:81], v[6:7], v[44:45] op_sel:[0,0,1] op_sel_hi:[1,1,0] neg_lo:[0,0,1] neg_hi:[0,0,1]
	v_pk_fma_f32 v[6:7], v[104:105], v[102:103], v[46:47] op_sel:[0,0,1] op_sel_hi:[1,1,0] neg_lo:[0,0,1] neg_hi:[0,0,1]
	v_mov_b32_e32 v3, v5
	v_pk_fma_f32 v[4:5], v[104:105], v[102:103], v[46:47] op_sel:[0,0,1] op_sel_hi:[1,1,0]
	v_mov_b32_e32 v15, v9
	v_mov_b32_e32 v5, v7
	v_pk_add_f32 v[6:7], v[2:3], v[4:5]
	v_pk_add_f32 v[8:9], v[2:3], v[4:5] neg_lo:[0,1] neg_hi:[0,1]
	v_pk_fma_f32 v[6:7], v[6:7], 0.5, v[0:1] op_sel_hi:[1,0,1] neg_lo:[1,0,0] neg_hi:[1,0,0]
	v_pk_mul_f32 v[8:9], v[8:9], s[0:1] op_sel_hi:[1,0]
	v_pk_add_f32 v[0:1], v[0:1], v[2:3]
	v_pk_add_f32 v[10:11], v[6:7], v[8:9] op_sel:[0,1] op_sel_hi:[1,0]
	v_pk_add_f32 v[6:7], v[6:7], v[8:9] op_sel:[0,1] op_sel_hi:[1,0] neg_lo:[0,1] neg_hi:[0,1]
	v_pk_add_f32 v[0:1], v[0:1], v[4:5]
	v_mov_b32_e32 v2, v6
	v_mov_b32_e32 v3, v11
	v_add_u32_e32 v4, 0x1c00, v159
	v_mov_b32_e32 v11, v7
	ds_write_b64 v157, v[14:15] offset:2560
	ds_write2_b64 v4, v[0:1], v[2:3] offset0:64 offset1:224
	ds_write_b64 v159, v[10:11] offset:10240
	s_and_saveexec_b64 s[0:1], s[2:3]
	s_cbranch_execz .LBB0_25
; %bb.24:
	v_mov_b32_e32 v0, v36
	v_mov_b32_e32 v1, v31
	v_add_u32_e32 v2, 0x1c00, v161
	ds_write2_b64 v2, v[28:29], v[0:1] offset0:64 offset1:224
	v_mov_b32_e32 v0, v30
	v_mov_b32_e32 v1, v37
	ds_write_b64 v161, v[0:1] offset:10240
.LBB0_25:
	s_or_b64 exec, exec, s[0:1]
	v_add_u32_e32 v4, 0x1c00, v122
	s_waitcnt lgkmcnt(0)
	s_barrier
	ds_read2_b64 v[24:27], v4 offset0:64 offset1:154
	v_add_u32_e32 v4, 0x1000, v122
	ds_read2_b64 v[16:19], v4 offset0:58 offset1:148
	v_add_u32_e32 v4, 0x400, v122
	;; [unrolled: 2-line block ×3, first 2 shown]
	v_add_u32_e32 v0, 0x800, v122
	ds_read2_b64 v[12:15], v4 offset0:116 offset1:206
	v_add_u32_e32 v4, 0x1400, v122
	ds_read2_b64 v[20:23], v122 offset1:90
	ds_read2_b64 v[0:3], v0 offset0:104 offset1:224
	ds_read2_b64 v[4:7], v4 offset0:110 offset1:200
	ds_read_b64 v[38:39], v122 offset:10560
	s_and_saveexec_b64 s[0:1], s[4:5]
	s_xor_b64 s[0:1], exec, s[0:1]
	s_or_saveexec_b64 s[0:1], s[0:1]
	v_mov_b32_e32 v46, v64
	v_mov_b32_e32 v47, v64
	;; [unrolled: 1-line block ×30, first 2 shown]
	s_xor_b64 exec, exec, s[0:1]
	s_cbranch_execz .LBB0_27
; %bb.26:
	ds_read_b64 v[80:81], v122 offset:11280
	ds_read_b64 v[36:37], v122 offset:7440
	;; [unrolled: 1-line block ×3, first 2 shown]
	s_waitcnt lgkmcnt(2)
	v_mov_b32_e32 v30, v80
	s_waitcnt lgkmcnt(1)
	v_mov_b32_e32 v31, v37
	v_mov_b32_e32 v37, v81
.LBB0_27:
	s_or_b64 exec, exec, s[0:1]
	s_waitcnt lgkmcnt(2)
	v_pk_mul_f32 v[56:57], v[56:57], v[2:3]
	v_pk_mul_f32 v[58:59], v[58:59], v[24:25]
	v_pk_fma_f32 v[80:81], v[70:71], v[2:3], v[56:57] op_sel:[0,0,1] op_sel_hi:[1,1,0]
	v_pk_fma_f32 v[2:3], v[70:71], v[2:3], v[56:57] op_sel:[0,0,1] op_sel_hi:[1,1,0] neg_lo:[0,0,1] neg_hi:[0,0,1]
	s_mov_b32 s0, 0x3f5db3d7
	v_mov_b32_e32 v81, v3
	v_pk_fma_f32 v[2:3], v[68:69], v[24:25], v[58:59] op_sel:[0,0,1] op_sel_hi:[1,1,0]
	v_pk_fma_f32 v[24:25], v[68:69], v[24:25], v[58:59] op_sel:[0,0,1] op_sel_hi:[1,1,0] neg_lo:[0,0,1] neg_hi:[0,0,1]
	v_pk_mul_f32 v[76:77], v[76:77], v[16:17]
	v_mov_b32_e32 v3, v25
	v_pk_add_f32 v[24:25], v[20:21], v[80:81]
	v_pk_add_f32 v[56:57], v[80:81], v[2:3]
	;; [unrolled: 1-line block ×3, first 2 shown]
	v_pk_add_f32 v[2:3], v[80:81], v[2:3] neg_lo:[0,1] neg_hi:[0,1]
	v_pk_fma_f32 v[20:21], v[56:57], 0.5, v[20:21] op_sel_hi:[1,0,1] neg_lo:[1,0,0] neg_hi:[1,0,0]
	v_pk_mul_f32 v[2:3], v[2:3], s[0:1] op_sel_hi:[1,0]
	v_pk_mul_f32 v[78:79], v[78:79], v[26:27]
	v_pk_add_f32 v[56:57], v[20:21], v[2:3] op_sel:[0,1] op_sel_hi:[1,0] neg_lo:[0,1] neg_hi:[0,1]
	v_pk_add_f32 v[2:3], v[20:21], v[2:3] op_sel:[0,1] op_sel_hi:[1,0]
	v_mov_b32_e32 v20, v56
	v_mov_b32_e32 v21, v3
	;; [unrolled: 1-line block ×3, first 2 shown]
	ds_write_b64 v122, v[2:3] offset:7680
	v_pk_fma_f32 v[2:3], v[54:55], v[16:17], v[76:77] op_sel:[0,0,1] op_sel_hi:[1,1,0]
	v_pk_fma_f32 v[16:17], v[54:55], v[16:17], v[76:77] op_sel:[0,0,1] op_sel_hi:[1,1,0] neg_lo:[0,0,1] neg_hi:[0,0,1]
	ds_write_b64 v122, v[20:21] offset:3840
	v_mov_b32_e32 v3, v17
	v_pk_fma_f32 v[16:17], v[52:53], v[26:27], v[78:79] op_sel:[0,0,1] op_sel_hi:[1,1,0]
	v_pk_fma_f32 v[20:21], v[52:53], v[26:27], v[78:79] op_sel:[0,0,1] op_sel_hi:[1,1,0] neg_lo:[0,0,1] neg_hi:[0,0,1]
	v_pk_mul_f32 v[72:73], v[72:73], v[18:19]
	v_mov_b32_e32 v17, v21
	v_pk_add_f32 v[20:21], v[22:23], v[2:3]
	v_pk_mul_f32 v[74:75], v[74:75], v[12:13]
	v_pk_add_f32 v[20:21], v[20:21], v[16:17]
	ds_write2_b64 v122, v[24:25], v[20:21] offset1:90
	v_pk_add_f32 v[20:21], v[2:3], v[16:17]
	v_pk_add_f32 v[2:3], v[2:3], v[16:17] neg_lo:[0,1] neg_hi:[0,1]
	v_pk_fma_f32 v[20:21], v[20:21], 0.5, v[22:23] op_sel_hi:[1,0,1] neg_lo:[1,0,0] neg_hi:[1,0,0]
	v_pk_mul_f32 v[2:3], v[2:3], s[0:1] op_sel_hi:[1,0]
	s_waitcnt lgkmcnt(4)
	v_pk_mul_f32 v[64:65], v[64:65], v[4:5]
	v_pk_add_f32 v[16:17], v[20:21], v[2:3] op_sel:[0,1] op_sel_hi:[1,0] neg_lo:[0,1] neg_hi:[0,1]
	v_pk_add_f32 v[2:3], v[20:21], v[2:3] op_sel:[0,1] op_sel_hi:[1,0]
	v_mov_b32_e32 v20, v16
	v_mov_b32_e32 v21, v3
	;; [unrolled: 1-line block ×3, first 2 shown]
	ds_write_b64 v122, v[2:3] offset:8400
	v_pk_fma_f32 v[2:3], v[50:51], v[18:19], v[72:73] op_sel:[0,0,1] op_sel_hi:[1,1,0]
	v_pk_fma_f32 v[16:17], v[50:51], v[18:19], v[72:73] op_sel:[0,0,1] op_sel_hi:[1,1,0] neg_lo:[0,0,1] neg_hi:[0,0,1]
	v_pk_mul_f32 v[66:67], v[66:67], v[14:15]
	v_mov_b32_e32 v3, v17
	v_pk_fma_f32 v[16:17], v[48:49], v[12:13], v[74:75] op_sel:[0,0,1] op_sel_hi:[1,1,0]
	v_pk_fma_f32 v[12:13], v[48:49], v[12:13], v[74:75] op_sel:[0,0,1] op_sel_hi:[1,1,0] neg_lo:[0,0,1] neg_hi:[0,0,1]
	v_pk_mul_f32 v[60:61], v[60:61], v[6:7]
	v_mov_b32_e32 v17, v13
	v_pk_add_f32 v[12:13], v[8:9], v[2:3]
	v_pk_add_f32 v[18:19], v[2:3], v[16:17]
	v_pk_add_f32 v[2:3], v[2:3], v[16:17] neg_lo:[0,1] neg_hi:[0,1]
	v_pk_fma_f32 v[8:9], v[18:19], 0.5, v[8:9] op_sel_hi:[1,0,1] neg_lo:[1,0,0] neg_hi:[1,0,0]
	v_pk_mul_f32 v[2:3], v[2:3], s[0:1] op_sel_hi:[1,0]
	v_pk_add_f32 v[12:13], v[12:13], v[16:17]
	v_pk_add_f32 v[16:17], v[8:9], v[2:3] op_sel:[0,1] op_sel_hi:[1,0] neg_lo:[0,1] neg_hi:[0,1]
	v_pk_add_f32 v[8:9], v[8:9], v[2:3] op_sel:[0,1] op_sel_hi:[1,0]
	v_mov_b32_e32 v18, v16
	v_mov_b32_e32 v19, v9
	;; [unrolled: 1-line block ×3, first 2 shown]
	v_pk_fma_f32 v[16:17], v[46:47], v[4:5], v[64:65] op_sel:[0,0,1] op_sel_hi:[1,1,0]
	v_pk_fma_f32 v[4:5], v[46:47], v[4:5], v[64:65] op_sel:[0,0,1] op_sel_hi:[1,1,0] neg_lo:[0,0,1] neg_hi:[0,0,1]
	v_add_u32_e32 v2, 0x1000, v122
	v_mov_b32_e32 v17, v5
	v_pk_fma_f32 v[4:5], v[44:45], v[14:15], v[66:67] op_sel:[0,0,1] op_sel_hi:[1,1,0]
	v_pk_fma_f32 v[14:15], v[44:45], v[14:15], v[66:67] op_sel:[0,0,1] op_sel_hi:[1,1,0] neg_lo:[0,0,1] neg_hi:[0,0,1]
	v_add_u32_e32 v3, 0x400, v122
	v_mov_b32_e32 v5, v15
	v_pk_add_f32 v[14:15], v[10:11], v[16:17]
	ds_write2_b64 v2, v[20:21], v[18:19] offset0:58 offset1:148
	v_pk_add_f32 v[14:15], v[14:15], v[4:5]
	ds_write2_b64 v3, v[12:13], v[14:15] offset0:52 offset1:142
	v_pk_add_f32 v[12:13], v[16:17], v[4:5]
	v_pk_add_f32 v[4:5], v[16:17], v[4:5] neg_lo:[0,1] neg_hi:[0,1]
	v_pk_fma_f32 v[10:11], v[12:13], 0.5, v[10:11] op_sel_hi:[1,0,1] neg_lo:[1,0,0] neg_hi:[1,0,0]
	v_pk_mul_f32 v[4:5], v[4:5], s[0:1] op_sel_hi:[1,0]
	v_add_u32_e32 v3, 0x2000, v122
	v_pk_add_f32 v[12:13], v[10:11], v[4:5] op_sel:[0,1] op_sel_hi:[1,0] neg_lo:[0,1] neg_hi:[0,1]
	v_pk_add_f32 v[4:5], v[10:11], v[4:5] op_sel:[0,1] op_sel_hi:[1,0]
	s_waitcnt lgkmcnt(6)
	v_pk_mul_f32 v[62:63], v[62:63], v[38:39]
	v_mov_b32_e32 v11, v5
	v_mov_b32_e32 v5, v13
	ds_write2_b64 v3, v[8:9], v[4:5] offset0:116 offset1:206
	v_pk_fma_f32 v[4:5], v[42:43], v[6:7], v[60:61] op_sel:[0,0,1] op_sel_hi:[1,1,0]
	v_pk_fma_f32 v[6:7], v[42:43], v[6:7], v[60:61] op_sel:[0,0,1] op_sel_hi:[1,1,0] neg_lo:[0,0,1] neg_hi:[0,0,1]
	v_pk_fma_f32 v[8:9], v[40:41], v[38:39], v[62:63] op_sel:[0,0,1] op_sel_hi:[1,1,0] neg_lo:[0,0,1] neg_hi:[0,0,1]
	v_mov_b32_e32 v5, v7
	v_pk_fma_f32 v[6:7], v[40:41], v[38:39], v[62:63] op_sel:[0,0,1] op_sel_hi:[1,1,0]
	v_mov_b32_e32 v10, v12
	v_mov_b32_e32 v7, v9
	v_pk_add_f32 v[8:9], v[0:1], v[4:5]
	s_nop 0
	v_pk_add_f32 v[8:9], v[8:9], v[6:7]
	ds_write_b64 v122, v[8:9] offset:2880
	v_pk_add_f32 v[8:9], v[4:5], v[6:7]
	v_pk_add_f32 v[4:5], v[4:5], v[6:7] neg_lo:[0,1] neg_hi:[0,1]
	v_pk_fma_f32 v[0:1], v[8:9], 0.5, v[0:1] op_sel_hi:[1,0,1] neg_lo:[1,0,0] neg_hi:[1,0,0]
	v_pk_mul_f32 v[4:5], v[4:5], s[0:1] op_sel_hi:[1,0]
	s_nop 0
	v_pk_add_f32 v[6:7], v[0:1], v[4:5] op_sel:[0,1] op_sel_hi:[1,0] neg_lo:[0,1] neg_hi:[0,1]
	v_pk_add_f32 v[0:1], v[0:1], v[4:5] op_sel:[0,1] op_sel_hi:[1,0]
	v_mov_b32_e32 v4, v6
	v_mov_b32_e32 v5, v1
	v_add_u32_e32 v1, 0x1400, v122
	ds_write2_b64 v1, v[10:11], v[4:5] offset0:110 offset1:200
	v_mov_b32_e32 v1, v7
	ds_write_b64 v122, v[0:1] offset:10560
	s_and_saveexec_b64 s[4:5], s[2:3]
	s_cbranch_execz .LBB0_29
; %bb.28:
	v_pk_mul_f32 v[0:1], v[32:33], v[30:31] op_sel:[0,1]
	v_pk_mul_f32 v[4:5], v[34:35], v[36:37] op_sel:[0,1]
	v_pk_fma_f32 v[6:7], v[32:33], v[36:37], v[0:1] op_sel:[0,0,1] op_sel_hi:[1,1,0]
	v_pk_fma_f32 v[0:1], v[32:33], v[36:37], v[0:1] op_sel:[0,0,1] op_sel_hi:[1,0,0] neg_lo:[1,0,0] neg_hi:[1,0,0]
	s_nop 0
	v_mov_b32_e32 v7, v1
	v_pk_fma_f32 v[0:1], v[34:35], v[30:31], v[4:5] op_sel:[0,0,1] op_sel_hi:[1,1,0]
	v_pk_fma_f32 v[4:5], v[34:35], v[30:31], v[4:5] op_sel:[0,0,1] op_sel_hi:[1,0,0] neg_lo:[1,0,0] neg_hi:[1,0,0]
	s_nop 0
	v_mov_b32_e32 v1, v5
	v_pk_add_f32 v[4:5], v[28:29], v[6:7]
	s_nop 0
	v_pk_add_f32 v[4:5], v[4:5], v[0:1]
	ds_write_b64 v122, v[4:5] offset:3600
	v_pk_add_f32 v[4:5], v[6:7], v[0:1]
	v_pk_add_f32 v[0:1], v[6:7], v[0:1] neg_lo:[0,1] neg_hi:[0,1]
	v_pk_fma_f32 v[4:5], -0.5, v[4:5], v[28:29] op_sel_hi:[0,1,1]
	v_pk_mul_f32 v[0:1], v[0:1], s[0:1] op_sel_hi:[1,0]
	s_nop 0
	v_pk_add_f32 v[6:7], v[4:5], v[0:1] op_sel:[0,1] op_sel_hi:[1,0] neg_lo:[0,1] neg_hi:[0,1]
	v_pk_add_f32 v[0:1], v[4:5], v[0:1] op_sel:[0,1] op_sel_hi:[1,0]
	v_mov_b32_e32 v4, v6
	v_mov_b32_e32 v5, v1
	;; [unrolled: 1-line block ×3, first 2 shown]
	ds_write_b64 v122, v[4:5] offset:7440
	ds_write_b64 v122, v[0:1] offset:11280
.LBB0_29:
	s_or_b64 exec, exec, s[4:5]
	s_waitcnt lgkmcnt(0)
	s_barrier
	ds_read2_b64 v[4:7], v122 offset1:144
	v_mad_u64_u32 v[8:9], s[0:1], s10, v132, 0
	v_mov_b32_e32 v10, v9
	v_mad_u64_u32 v[10:11], s[0:1], s11, v132, v[10:11]
	s_waitcnt lgkmcnt(0)
	v_mul_f32_e32 v3, v147, v5
	v_fmac_f32_e32 v3, v146, v4
	v_mov_b32_e32 v9, v10
	v_cvt_f64_f32_e32 v[10:11], v3
	v_mul_f32_e32 v3, v147, v4
	s_mov_b32 s0, 0x16c16c17
	v_fma_f32 v3, v146, v5, -v3
	s_mov_b32 s1, 0x3f46c16c
	v_cvt_f64_f32_e32 v[4:5], v3
	v_mul_f64 v[10:11], v[10:11], s[0:1]
	v_mul_f64 v[4:5], v[4:5], s[0:1]
	v_cvt_f32_f64_e32 v10, v[10:11]
	v_cvt_f32_f64_e32 v11, v[4:5]
	v_mad_u64_u32 v[4:5], s[2:3], s8, v124, 0
	v_mov_b32_e32 v12, v5
	v_mov_b32_e32 v0, s12
	v_mov_b32_e32 v1, s13
	v_mad_u64_u32 v[12:13], s[2:3], s9, v124, v[12:13]
	v_mul_f32_e32 v3, v145, v7
	v_mov_b32_e32 v5, v12
	v_lshl_add_u64 v[8:9], v[8:9], 3, v[0:1]
	v_fmac_f32_e32 v3, v144, v6
	v_lshl_add_u64 v[0:1], v[4:5], 3, v[8:9]
	v_cvt_f64_f32_e32 v[4:5], v3
	v_mul_f32_e32 v3, v145, v6
	v_mul_f64 v[4:5], v[4:5], s[0:1]
	v_fma_f32 v3, v144, v7, -v3
	global_store_dwordx2 v[0:1], v[10:11], off
	v_cvt_f32_f64_e32 v10, v[4:5]
	v_cvt_f64_f32_e32 v[4:5], v3
	v_mul_f64 v[4:5], v[4:5], s[0:1]
	v_add_u32_e32 v3, 0x800, v122
	v_cvt_f32_f64_e32 v11, v[4:5]
	ds_read2_b64 v[4:7], v3 offset0:32 offset1:176
	s_mul_i32 s2, s9, 0x90
	s_mul_hi_u32 s3, s8, 0x90
	s_add_i32 s3, s3, s2
	s_mul_i32 s2, s8, 0x90
	s_lshl_b64 s[2:3], s[2:3], 3
	s_waitcnt lgkmcnt(0)
	v_mul_f32_e32 v3, v139, v5
	v_lshl_add_u64 v[0:1], v[0:1], 0, s[2:3]
	v_fmac_f32_e32 v3, v138, v4
	global_store_dwordx2 v[0:1], v[10:11], off
	v_cvt_f64_f32_e32 v[10:11], v3
	v_mul_f32_e32 v3, v139, v4
	v_fma_f32 v3, v138, v5, -v3
	v_cvt_f64_f32_e32 v[4:5], v3
	v_mul_f64 v[10:11], v[10:11], s[0:1]
	v_mul_f64 v[4:5], v[4:5], s[0:1]
	v_cvt_f32_f64_e32 v10, v[10:11]
	v_cvt_f32_f64_e32 v11, v[4:5]
	v_lshl_add_u64 v[4:5], v[0:1], 0, s[2:3]
	v_mul_f32_e32 v0, v137, v7
	v_fmac_f32_e32 v0, v136, v6
	v_cvt_f64_f32_e32 v[0:1], v0
	v_mul_f64 v[0:1], v[0:1], s[0:1]
	global_store_dwordx2 v[4:5], v[10:11], off
	v_cvt_f32_f64_e32 v10, v[0:1]
	v_mul_f32_e32 v0, v137, v6
	v_fma_f32 v0, v136, v7, -v0
	v_cvt_f64_f32_e32 v[6:7], v0
	ds_read2_b64 v[0:3], v2 offset0:64 offset1:208
	v_mul_f64 v[6:7], v[6:7], s[0:1]
	v_cvt_f32_f64_e32 v11, v[6:7]
	v_lshl_add_u64 v[4:5], v[4:5], 0, s[2:3]
	global_store_dwordx2 v[4:5], v[10:11], off
	s_waitcnt lgkmcnt(0)
	v_mul_f32_e32 v6, v143, v1
	v_fmac_f32_e32 v6, v142, v0
	v_mul_f32_e32 v0, v143, v0
	v_fma_f32 v0, v142, v1, -v0
	v_cvt_f64_f32_e32 v[6:7], v6
	v_cvt_f64_f32_e32 v[0:1], v0
	v_mul_f64 v[6:7], v[6:7], s[0:1]
	v_mul_f64 v[0:1], v[0:1], s[0:1]
	v_cvt_f32_f64_e32 v6, v[6:7]
	v_cvt_f32_f64_e32 v7, v[0:1]
	v_mul_f32_e32 v0, v141, v3
	v_fmac_f32_e32 v0, v140, v2
	v_cvt_f64_f32_e32 v[0:1], v0
	v_lshl_add_u64 v[4:5], v[4:5], 0, s[2:3]
	v_mul_f64 v[0:1], v[0:1], s[0:1]
	global_store_dwordx2 v[4:5], v[6:7], off
	v_cvt_f32_f64_e32 v6, v[0:1]
	v_mul_f32_e32 v0, v141, v2
	v_fma_f32 v0, v140, v3, -v0
	v_cvt_f64_f32_e32 v[10:11], v0
	v_add_u32_e32 v0, 0x1800, v122
	ds_read2_b64 v[0:3], v0 offset0:96 offset1:240
	v_mul_f64 v[10:11], v[10:11], s[0:1]
	v_cvt_f32_f64_e32 v7, v[10:11]
	v_lshl_add_u64 v[4:5], v[4:5], 0, s[2:3]
	global_store_dwordx2 v[4:5], v[6:7], off
	s_waitcnt lgkmcnt(0)
	v_mul_f32_e32 v6, v135, v1
	v_fmac_f32_e32 v6, v134, v0
	v_mul_f32_e32 v0, v135, v0
	v_fma_f32 v0, v134, v1, -v0
	v_cvt_f64_f32_e32 v[6:7], v6
	v_cvt_f64_f32_e32 v[0:1], v0
	v_mul_f64 v[6:7], v[6:7], s[0:1]
	v_mul_f64 v[0:1], v[0:1], s[0:1]
	v_cvt_f32_f64_e32 v6, v[6:7]
	v_cvt_f32_f64_e32 v7, v[0:1]
	v_lshl_add_u64 v[0:1], v[4:5], 0, s[2:3]
	v_mul_f32_e32 v4, v131, v3
	v_fmac_f32_e32 v4, v130, v2
	v_mul_f32_e32 v2, v131, v2
	v_cvt_f64_f32_e32 v[4:5], v4
	v_fma_f32 v2, v130, v3, -v2
	v_mul_f64 v[4:5], v[4:5], s[0:1]
	v_cvt_f64_f32_e32 v[12:13], v2
	v_add_u32_e32 v2, 0x2400, v122
	global_store_dwordx2 v[0:1], v[6:7], off
	v_cvt_f32_f64_e32 v10, v[4:5]
	ds_read2_b64 v[4:7], v2 offset1:144
	v_mul_f64 v[12:13], v[12:13], s[0:1]
	v_cvt_f32_f64_e32 v11, v[12:13]
	v_lshl_add_u64 v[0:1], v[0:1], 0, s[2:3]
	global_store_dwordx2 v[0:1], v[10:11], off
	s_waitcnt lgkmcnt(0)
	v_mul_f32_e32 v3, v127, v5
	v_fmac_f32_e32 v3, v126, v4
	v_cvt_f64_f32_e32 v[10:11], v3
	v_mul_f32_e32 v3, v127, v4
	v_fma_f32 v3, v126, v5, -v3
	v_cvt_f64_f32_e32 v[4:5], v3
	v_mul_f64 v[10:11], v[10:11], s[0:1]
	v_mul_f64 v[4:5], v[4:5], s[0:1]
	v_cvt_f32_f64_e32 v10, v[10:11]
	v_cvt_f32_f64_e32 v11, v[4:5]
	v_mad_u64_u32 v[4:5], s[4:5], s8, v123, 0
	v_mov_b32_e32 v12, v5
	v_mad_u64_u32 v[12:13], s[4:5], s9, v123, v[12:13]
	v_mov_b32_e32 v5, v12
	v_mul_f32_e32 v3, v129, v7
	v_lshl_add_u64 v[4:5], v[4:5], 3, v[8:9]
	v_fmac_f32_e32 v3, v128, v6
	global_store_dwordx2 v[4:5], v[10:11], off
	v_cvt_f64_f32_e32 v[4:5], v3
	v_mul_f32_e32 v3, v129, v6
	v_fma_f32 v3, v128, v7, -v3
	v_cvt_f64_f32_e32 v[6:7], v3
	v_mov_b32_e32 v3, 0x900
	v_mad_u64_u32 v[0:1], s[4:5], s8, v3, v[0:1]
	v_mul_f64 v[4:5], v[4:5], s[0:1]
	v_mul_f64 v[6:7], v[6:7], s[0:1]
	s_mul_i32 s4, s9, 0x900
	v_cvt_f32_f64_e32 v4, v[4:5]
	v_cvt_f32_f64_e32 v5, v[6:7]
	v_add_u32_e32 v1, s4, v1
	global_store_dwordx2 v[0:1], v[4:5], off
	s_and_b64 exec, exec, s[6:7]
	s_cbranch_execz .LBB0_31
; %bb.30:
	global_load_dwordx2 v[8:9], v[120:121], off offset:720
	ds_read2_b64 v[4:7], v122 offset0:90 offset1:234
	v_mov_b32_e32 v3, 0xffffda50
	v_mad_u64_u32 v[0:1], s[4:5], s8, v3, v[0:1]
	s_mul_i32 s6, s9, 0xffffda50
	s_sub_i32 s4, s6, s8
	v_add_u32_e32 v1, s4, v1
	s_movk_i32 s4, 0x1000
	v_add_co_u32_e32 v10, vcc, s4, v120
	s_movk_i32 s4, 0x2000
	s_nop 0
	v_addc_co_u32_e32 v11, vcc, 0, v121, vcc
	s_waitcnt vmcnt(0) lgkmcnt(0)
	v_mul_f32_e32 v3, v5, v9
	v_mul_f32_e32 v9, v4, v9
	v_fmac_f32_e32 v3, v4, v8
	v_fma_f32 v8, v8, v5, -v9
	v_cvt_f64_f32_e32 v[4:5], v3
	v_cvt_f64_f32_e32 v[8:9], v8
	v_mul_f64 v[4:5], v[4:5], s[0:1]
	v_mul_f64 v[8:9], v[8:9], s[0:1]
	v_cvt_f32_f64_e32 v4, v[4:5]
	v_cvt_f32_f64_e32 v5, v[8:9]
	global_store_dwordx2 v[0:1], v[4:5], off
	global_load_dwordx2 v[4:5], v[120:121], off offset:1872
	v_lshl_add_u64 v[0:1], v[0:1], 0, s[2:3]
	s_waitcnt vmcnt(0)
	v_mul_f32_e32 v3, v7, v5
	v_mul_f32_e32 v5, v6, v5
	v_fmac_f32_e32 v3, v6, v4
	v_fma_f32 v6, v4, v7, -v5
	v_cvt_f64_f32_e32 v[4:5], v3
	v_cvt_f64_f32_e32 v[6:7], v6
	v_mul_f64 v[4:5], v[4:5], s[0:1]
	v_mul_f64 v[6:7], v[6:7], s[0:1]
	v_cvt_f32_f64_e32 v4, v[4:5]
	v_cvt_f32_f64_e32 v5, v[6:7]
	global_store_dwordx2 v[0:1], v[4:5], off
	global_load_dwordx2 v[8:9], v[120:121], off offset:3024
	v_add_u32_e32 v3, 0xa00, v122
	ds_read2_b64 v[4:7], v3 offset0:58 offset1:202
	v_lshl_add_u64 v[0:1], v[0:1], 0, s[2:3]
	s_waitcnt vmcnt(0) lgkmcnt(0)
	v_mul_f32_e32 v3, v5, v9
	v_mul_f32_e32 v9, v4, v9
	v_fmac_f32_e32 v3, v4, v8
	v_fma_f32 v8, v8, v5, -v9
	v_cvt_f64_f32_e32 v[4:5], v3
	v_cvt_f64_f32_e32 v[8:9], v8
	v_mul_f64 v[4:5], v[4:5], s[0:1]
	v_mul_f64 v[8:9], v[8:9], s[0:1]
	v_cvt_f32_f64_e32 v4, v[4:5]
	v_cvt_f32_f64_e32 v5, v[8:9]
	global_store_dwordx2 v[0:1], v[4:5], off
	global_load_dwordx2 v[4:5], v[10:11], off offset:80
	v_lshl_add_u64 v[0:1], v[0:1], 0, s[2:3]
	s_waitcnt vmcnt(0)
	v_mul_f32_e32 v3, v7, v5
	v_mul_f32_e32 v5, v6, v5
	v_fmac_f32_e32 v3, v6, v4
	v_fma_f32 v6, v4, v7, -v5
	v_cvt_f64_f32_e32 v[4:5], v3
	v_cvt_f64_f32_e32 v[6:7], v6
	v_mul_f64 v[4:5], v[4:5], s[0:1]
	v_mul_f64 v[6:7], v[6:7], s[0:1]
	v_cvt_f32_f64_e32 v4, v[4:5]
	v_cvt_f32_f64_e32 v5, v[6:7]
	global_store_dwordx2 v[0:1], v[4:5], off
	global_load_dwordx2 v[8:9], v[10:11], off offset:1232
	v_add_u32_e32 v3, 0x1400, v122
	ds_read2_b64 v[4:7], v3 offset0:26 offset1:170
	v_lshl_add_u64 v[0:1], v[0:1], 0, s[2:3]
	s_waitcnt vmcnt(0) lgkmcnt(0)
	v_mul_f32_e32 v3, v5, v9
	v_mul_f32_e32 v9, v4, v9
	v_fmac_f32_e32 v3, v4, v8
	v_fma_f32 v8, v8, v5, -v9
	v_cvt_f64_f32_e32 v[4:5], v3
	v_cvt_f64_f32_e32 v[8:9], v8
	v_mul_f64 v[4:5], v[4:5], s[0:1]
	v_mul_f64 v[8:9], v[8:9], s[0:1]
	v_cvt_f32_f64_e32 v4, v[4:5]
	v_cvt_f32_f64_e32 v5, v[8:9]
	global_store_dwordx2 v[0:1], v[4:5], off
	global_load_dwordx2 v[4:5], v[10:11], off offset:2384
	v_lshl_add_u64 v[0:1], v[0:1], 0, s[2:3]
	s_waitcnt vmcnt(0)
	v_mul_f32_e32 v3, v7, v5
	v_mul_f32_e32 v5, v6, v5
	v_fmac_f32_e32 v3, v6, v4
	v_fma_f32 v6, v4, v7, -v5
	v_cvt_f64_f32_e32 v[4:5], v3
	v_cvt_f64_f32_e32 v[6:7], v6
	v_mul_f64 v[4:5], v[4:5], s[0:1]
	v_mul_f64 v[6:7], v[6:7], s[0:1]
	v_cvt_f32_f64_e32 v4, v[4:5]
	v_cvt_f32_f64_e32 v5, v[6:7]
	global_store_dwordx2 v[0:1], v[4:5], off
	global_load_dwordx2 v[8:9], v[10:11], off offset:3536
	v_add_u32_e32 v3, 0x1c00, v122
	ds_read2_b64 v[4:7], v3 offset0:58 offset1:202
	v_add_co_u32_e32 v10, vcc, s4, v120
	v_lshl_add_u64 v[0:1], v[0:1], 0, s[2:3]
	s_nop 0
	v_addc_co_u32_e32 v11, vcc, 0, v121, vcc
	s_waitcnt vmcnt(0) lgkmcnt(0)
	v_mul_f32_e32 v3, v5, v9
	v_mul_f32_e32 v9, v4, v9
	v_fmac_f32_e32 v3, v4, v8
	v_fma_f32 v8, v8, v5, -v9
	v_cvt_f64_f32_e32 v[4:5], v3
	v_cvt_f64_f32_e32 v[8:9], v8
	v_mul_f64 v[4:5], v[4:5], s[0:1]
	v_mul_f64 v[8:9], v[8:9], s[0:1]
	v_cvt_f32_f64_e32 v4, v[4:5]
	v_cvt_f32_f64_e32 v5, v[8:9]
	global_store_dwordx2 v[0:1], v[4:5], off
	global_load_dwordx2 v[4:5], v[10:11], off offset:592
	v_lshl_add_u64 v[8:9], v[0:1], 0, s[2:3]
	s_waitcnt vmcnt(0)
	v_mul_f32_e32 v0, v7, v5
	v_mul_f32_e32 v1, v6, v5
	v_fmac_f32_e32 v0, v6, v4
	v_fma_f32 v3, v4, v7, -v1
	v_cvt_f64_f32_e32 v[0:1], v0
	v_cvt_f64_f32_e32 v[4:5], v3
	v_mul_f64 v[0:1], v[0:1], s[0:1]
	v_mul_f64 v[4:5], v[4:5], s[0:1]
	v_cvt_f32_f64_e32 v0, v[0:1]
	v_cvt_f32_f64_e32 v1, v[4:5]
	global_store_dwordx2 v[8:9], v[0:1], off
	global_load_dwordx2 v[4:5], v[10:11], off offset:1744
	ds_read2_b64 v[0:3], v2 offset0:90 offset1:234
	v_lshl_add_u64 v[6:7], v[8:9], 0, s[2:3]
	s_waitcnt vmcnt(0) lgkmcnt(0)
	v_mul_f32_e32 v8, v1, v5
	v_mul_f32_e32 v5, v0, v5
	v_fmac_f32_e32 v8, v0, v4
	v_fma_f32 v4, v4, v1, -v5
	v_cvt_f64_f32_e32 v[0:1], v8
	v_cvt_f64_f32_e32 v[4:5], v4
	v_mul_f64 v[0:1], v[0:1], s[0:1]
	v_mul_f64 v[4:5], v[4:5], s[0:1]
	v_cvt_f32_f64_e32 v0, v[0:1]
	v_cvt_f32_f64_e32 v1, v[4:5]
	global_store_dwordx2 v[6:7], v[0:1], off
	global_load_dwordx2 v[0:1], v[10:11], off offset:2896
	s_waitcnt vmcnt(0)
	v_mul_f32_e32 v4, v3, v1
	v_mul_f32_e32 v1, v2, v1
	v_fmac_f32_e32 v4, v2, v0
	v_fma_f32 v2, v0, v3, -v1
	v_cvt_f64_f32_e32 v[0:1], v4
	v_cvt_f64_f32_e32 v[2:3], v2
	v_mul_f64 v[0:1], v[0:1], s[0:1]
	v_mul_f64 v[2:3], v[2:3], s[0:1]
	v_cvt_f32_f64_e32 v0, v[0:1]
	v_cvt_f32_f64_e32 v1, v[2:3]
	v_lshl_add_u64 v[2:3], v[6:7], 0, s[2:3]
	global_store_dwordx2 v[2:3], v[0:1], off
.LBB0_31:
	s_endpgm
	.section	.rodata,"a",@progbits
	.p2align	6, 0x0
	.amdhsa_kernel bluestein_single_fwd_len1440_dim1_sp_op_CI_CI
		.amdhsa_group_segment_fixed_size 11520
		.amdhsa_private_segment_fixed_size 0
		.amdhsa_kernarg_size 104
		.amdhsa_user_sgpr_count 2
		.amdhsa_user_sgpr_dispatch_ptr 0
		.amdhsa_user_sgpr_queue_ptr 0
		.amdhsa_user_sgpr_kernarg_segment_ptr 1
		.amdhsa_user_sgpr_dispatch_id 0
		.amdhsa_user_sgpr_kernarg_preload_length 0
		.amdhsa_user_sgpr_kernarg_preload_offset 0
		.amdhsa_user_sgpr_private_segment_size 0
		.amdhsa_uses_dynamic_stack 0
		.amdhsa_enable_private_segment 0
		.amdhsa_system_sgpr_workgroup_id_x 1
		.amdhsa_system_sgpr_workgroup_id_y 0
		.amdhsa_system_sgpr_workgroup_id_z 0
		.amdhsa_system_sgpr_workgroup_info 0
		.amdhsa_system_vgpr_workitem_id 0
		.amdhsa_next_free_vgpr 244
		.amdhsa_next_free_sgpr 26
		.amdhsa_accum_offset 244
		.amdhsa_reserve_vcc 1
		.amdhsa_float_round_mode_32 0
		.amdhsa_float_round_mode_16_64 0
		.amdhsa_float_denorm_mode_32 3
		.amdhsa_float_denorm_mode_16_64 3
		.amdhsa_dx10_clamp 1
		.amdhsa_ieee_mode 1
		.amdhsa_fp16_overflow 0
		.amdhsa_tg_split 0
		.amdhsa_exception_fp_ieee_invalid_op 0
		.amdhsa_exception_fp_denorm_src 0
		.amdhsa_exception_fp_ieee_div_zero 0
		.amdhsa_exception_fp_ieee_overflow 0
		.amdhsa_exception_fp_ieee_underflow 0
		.amdhsa_exception_fp_ieee_inexact 0
		.amdhsa_exception_int_div_zero 0
	.end_amdhsa_kernel
	.text
.Lfunc_end0:
	.size	bluestein_single_fwd_len1440_dim1_sp_op_CI_CI, .Lfunc_end0-bluestein_single_fwd_len1440_dim1_sp_op_CI_CI
                                        ; -- End function
	.section	.AMDGPU.csdata,"",@progbits
; Kernel info:
; codeLenInByte = 17144
; NumSgprs: 32
; NumVgprs: 244
; NumAgprs: 0
; TotalNumVgprs: 244
; ScratchSize: 0
; MemoryBound: 0
; FloatMode: 240
; IeeeMode: 1
; LDSByteSize: 11520 bytes/workgroup (compile time only)
; SGPRBlocks: 3
; VGPRBlocks: 30
; NumSGPRsForWavesPerEU: 32
; NumVGPRsForWavesPerEU: 244
; AccumOffset: 244
; Occupancy: 2
; WaveLimiterHint : 1
; COMPUTE_PGM_RSRC2:SCRATCH_EN: 0
; COMPUTE_PGM_RSRC2:USER_SGPR: 2
; COMPUTE_PGM_RSRC2:TRAP_HANDLER: 0
; COMPUTE_PGM_RSRC2:TGID_X_EN: 1
; COMPUTE_PGM_RSRC2:TGID_Y_EN: 0
; COMPUTE_PGM_RSRC2:TGID_Z_EN: 0
; COMPUTE_PGM_RSRC2:TIDIG_COMP_CNT: 0
; COMPUTE_PGM_RSRC3_GFX90A:ACCUM_OFFSET: 60
; COMPUTE_PGM_RSRC3_GFX90A:TG_SPLIT: 0
	.text
	.p2alignl 6, 3212836864
	.fill 256, 4, 3212836864
	.type	__hip_cuid_da1dd10f1d92d224,@object ; @__hip_cuid_da1dd10f1d92d224
	.section	.bss,"aw",@nobits
	.globl	__hip_cuid_da1dd10f1d92d224
__hip_cuid_da1dd10f1d92d224:
	.byte	0                               ; 0x0
	.size	__hip_cuid_da1dd10f1d92d224, 1

	.ident	"AMD clang version 19.0.0git (https://github.com/RadeonOpenCompute/llvm-project roc-6.4.0 25133 c7fe45cf4b819c5991fe208aaa96edf142730f1d)"
	.section	".note.GNU-stack","",@progbits
	.addrsig
	.addrsig_sym __hip_cuid_da1dd10f1d92d224
	.amdgpu_metadata
---
amdhsa.kernels:
  - .agpr_count:     0
    .args:
      - .actual_access:  read_only
        .address_space:  global
        .offset:         0
        .size:           8
        .value_kind:     global_buffer
      - .actual_access:  read_only
        .address_space:  global
        .offset:         8
        .size:           8
        .value_kind:     global_buffer
      - .actual_access:  read_only
        .address_space:  global
        .offset:         16
        .size:           8
        .value_kind:     global_buffer
      - .actual_access:  read_only
        .address_space:  global
        .offset:         24
        .size:           8
        .value_kind:     global_buffer
      - .actual_access:  read_only
        .address_space:  global
        .offset:         32
        .size:           8
        .value_kind:     global_buffer
      - .offset:         40
        .size:           8
        .value_kind:     by_value
      - .address_space:  global
        .offset:         48
        .size:           8
        .value_kind:     global_buffer
      - .address_space:  global
        .offset:         56
        .size:           8
        .value_kind:     global_buffer
      - .address_space:  global
        .offset:         64
        .size:           8
        .value_kind:     global_buffer
      - .address_space:  global
        .offset:         72
        .size:           8
        .value_kind:     global_buffer
      - .offset:         80
        .size:           4
        .value_kind:     by_value
      - .address_space:  global
        .offset:         88
        .size:           8
        .value_kind:     global_buffer
      - .address_space:  global
        .offset:         96
        .size:           8
        .value_kind:     global_buffer
    .group_segment_fixed_size: 11520
    .kernarg_segment_align: 8
    .kernarg_segment_size: 104
    .language:       OpenCL C
    .language_version:
      - 2
      - 0
    .max_flat_workgroup_size: 90
    .name:           bluestein_single_fwd_len1440_dim1_sp_op_CI_CI
    .private_segment_fixed_size: 0
    .sgpr_count:     32
    .sgpr_spill_count: 0
    .symbol:         bluestein_single_fwd_len1440_dim1_sp_op_CI_CI.kd
    .uniform_work_group_size: 1
    .uses_dynamic_stack: false
    .vgpr_count:     244
    .vgpr_spill_count: 0
    .wavefront_size: 64
amdhsa.target:   amdgcn-amd-amdhsa--gfx950
amdhsa.version:
  - 1
  - 2
...

	.end_amdgpu_metadata
